;; amdgpu-corpus repo=ROCm/rocFFT kind=compiled arch=gfx1030 opt=O3
	.text
	.amdgcn_target "amdgcn-amd-amdhsa--gfx1030"
	.amdhsa_code_object_version 6
	.protected	bluestein_single_back_len221_dim1_half_op_CI_CI ; -- Begin function bluestein_single_back_len221_dim1_half_op_CI_CI
	.globl	bluestein_single_back_len221_dim1_half_op_CI_CI
	.p2align	8
	.type	bluestein_single_back_len221_dim1_half_op_CI_CI,@function
bluestein_single_back_len221_dim1_half_op_CI_CI: ; @bluestein_single_back_len221_dim1_half_op_CI_CI
; %bb.0:
	s_load_dwordx4 s[0:3], s[4:5], 0x28
	v_mul_u32_u24_e32 v1, 0xf10, v0
	v_lshrrev_b32_e32 v1, 16, v1
	v_mad_u64_u32 v[12:13], null, s6, 7, v[1:2]
	v_mov_b32_e32 v13, 0
	s_waitcnt lgkmcnt(0)
	v_cmp_gt_u64_e32 vcc_lo, s[0:1], v[12:13]
	s_and_saveexec_b32 s0, vcc_lo
	s_cbranch_execz .LBB0_15
; %bb.1:
	v_mul_hi_u32 v2, 0x24924925, v12
	v_mul_lo_u16 v1, v1, 17
	s_clause 0x1
	s_load_dwordx2 s[12:13], s[4:5], 0x0
	s_load_dwordx2 s[14:15], s[4:5], 0x38
	v_sub_nc_u16 v0, v0, v1
	v_sub_nc_u32_e32 v3, v12, v2
	v_and_b32_e32 v31, 0xffff, v0
	v_cmp_gt_u16_e32 vcc_lo, 13, v0
	v_lshrrev_b32_e32 v3, 1, v3
	v_lshlrev_b32_e32 v30, 2, v31
	v_or_b32_e32 v29, 0xd0, v31
	v_add_nc_u32_e32 v2, v3, v2
	v_lshrrev_b32_e32 v2, 2, v2
	v_mul_lo_u32 v2, v2, 7
	v_sub_nc_u32_e32 v1, v12, v2
	v_mul_u32_u24_e32 v15, 0xdd, v1
	v_lshlrev_b32_e32 v32, 2, v15
	s_and_saveexec_b32 s1, vcc_lo
	s_cbranch_execz .LBB0_3
; %bb.2:
	s_load_dwordx2 s[6:7], s[4:5], 0x18
	v_lshl_add_u32 v40, v31, 2, v32
	v_add_nc_u32_e32 v43, v32, v30
	s_waitcnt lgkmcnt(0)
	s_load_dwordx4 s[8:11], s[6:7], 0x0
	s_clause 0x2
	global_load_dword v10, v30, s[12:13]
	global_load_dword v11, v30, s[12:13] offset:52
	global_load_dword v13, v30, s[12:13] offset:104
	s_waitcnt lgkmcnt(0)
	v_mad_u64_u32 v[0:1], null, s10, v12, 0
	v_mad_u64_u32 v[2:3], null, s8, v31, 0
	;; [unrolled: 1-line block ×3, first 2 shown]
	s_mul_i32 s0, s9, 52
	s_mul_hi_u32 s6, s8, 52
	s_mul_i32 s7, s8, 52
	s_add_i32 s6, s6, s0
	v_mad_u64_u32 v[6:7], null, s11, v12, v[1:2]
	v_mad_u64_u32 v[7:8], null, s9, v31, v[3:4]
	;; [unrolled: 1-line block ×3, first 2 shown]
	v_mov_b32_e32 v1, v6
	v_mov_b32_e32 v3, v7
	global_load_dword v6, v30, s[12:13] offset:832
	v_lshlrev_b64 v[0:1], 2, v[0:1]
	v_mov_b32_e32 v5, v8
	v_lshlrev_b64 v[2:3], 2, v[2:3]
	v_add_co_u32 v7, s0, s2, v0
	v_add_co_ci_u32_e64 v8, s0, s3, v1, s0
	v_lshlrev_b64 v[0:1], 2, v[4:5]
	v_add_co_u32 v2, s0, v7, v2
	v_add_co_ci_u32_e64 v3, s0, v8, v3, s0
	v_add_co_u32 v0, s0, v7, v0
	v_add_co_ci_u32_e64 v1, s0, v8, v1, s0
	s_clause 0x1
	global_load_dword v4, v[2:3], off
	global_load_dword v5, v[0:1], off
	v_add_co_u32 v2, s0, v2, s7
	v_add_co_ci_u32_e64 v3, s0, s6, v3, s0
	v_add_co_u32 v0, s0, v2, s7
	v_add_co_ci_u32_e64 v1, s0, s6, v3, s0
	s_clause 0x1
	global_load_dword v7, v[2:3], off
	global_load_dword v8, v[0:1], off
	v_add_co_u32 v2, s0, v0, s7
	v_add_co_ci_u32_e64 v3, s0, s6, v1, s0
	v_add_co_u32 v0, s0, v2, s7
	v_add_co_ci_u32_e64 v1, s0, s6, v3, s0
	global_load_dword v9, v30, s[12:13] offset:156
	s_clause 0x1
	global_load_dword v14, v[2:3], off
	global_load_dword v16, v[0:1], off
	v_add_co_u32 v0, s0, v0, s7
	v_add_co_ci_u32_e64 v1, s0, s6, v1, s0
	s_clause 0x3
	global_load_dword v17, v30, s[12:13] offset:208
	global_load_dword v18, v30, s[12:13] offset:260
	global_load_dword v19, v30, s[12:13] offset:312
	global_load_dword v20, v30, s[12:13] offset:364
	v_add_co_u32 v2, s0, v0, s7
	v_add_co_ci_u32_e64 v3, s0, s6, v1, s0
	global_load_dword v21, v[0:1], off
	v_add_co_u32 v0, s0, v2, s7
	v_add_co_ci_u32_e64 v1, s0, s6, v3, s0
	global_load_dword v22, v[2:3], off
	;; [unrolled: 3-line block ×3, first 2 shown]
	v_add_co_u32 v0, s0, v2, s7
	v_add_co_ci_u32_e64 v1, s0, s6, v3, s0
	global_load_dword v24, v30, s[12:13] offset:416
	global_load_dword v25, v[2:3], off
	global_load_dword v26, v[0:1], off
	v_add_co_u32 v0, s0, v0, s7
	v_add_co_ci_u32_e64 v1, s0, s6, v1, s0
	s_clause 0x3
	global_load_dword v27, v30, s[12:13] offset:468
	global_load_dword v28, v30, s[12:13] offset:520
	;; [unrolled: 1-line block ×4, first 2 shown]
	v_add_co_u32 v2, s0, v0, s7
	v_add_co_ci_u32_e64 v3, s0, s6, v1, s0
	global_load_dword v35, v[0:1], off
	v_add_co_u32 v0, s0, v2, s7
	v_add_co_ci_u32_e64 v1, s0, s6, v3, s0
	global_load_dword v36, v[2:3], off
	;; [unrolled: 3-line block ×4, first 2 shown]
	v_add_co_u32 v2, s0, v0, s7
	v_add_co_ci_u32_e64 v3, s0, s6, v1, s0
	global_load_dword v39, v30, s[12:13] offset:676
	global_load_dword v0, v[0:1], off
	global_load_dword v1, v[2:3], off
	s_clause 0x1
	global_load_dword v2, v30, s[12:13] offset:728
	global_load_dword v3, v30, s[12:13] offset:780
	s_waitcnt vmcnt(29)
	v_lshrrev_b32_e32 v41, 16, v4
	v_mul_f16_sdwa v42, v10, v4 dst_sel:DWORD dst_unused:UNUSED_PAD src0_sel:WORD_1 src1_sel:DWORD
	s_waitcnt vmcnt(28)
	v_lshrrev_b32_e32 v44, 16, v5
	v_mul_f16_sdwa v45, v6, v5 dst_sel:DWORD dst_unused:UNUSED_PAD src0_sel:WORD_1 src1_sel:DWORD
	v_mul_f16_sdwa v46, v10, v41 dst_sel:DWORD dst_unused:UNUSED_PAD src0_sel:WORD_1 src1_sel:DWORD
	v_fma_f16 v41, v10, v41, -v42
	v_mul_f16_sdwa v48, v6, v44 dst_sel:DWORD dst_unused:UNUSED_PAD src0_sel:WORD_1 src1_sel:DWORD
	v_fma_f16 v44, v6, v44, -v45
	v_fmac_f16_e32 v46, v10, v4
	s_waitcnt vmcnt(27)
	v_lshrrev_b32_e32 v42, 16, v7
	v_mul_f16_sdwa v47, v11, v7 dst_sel:DWORD dst_unused:UNUSED_PAD src0_sel:WORD_1 src1_sel:DWORD
	v_fmac_f16_e32 v48, v6, v5
	s_waitcnt vmcnt(26)
	v_mul_f16_sdwa v45, v13, v8 dst_sel:DWORD dst_unused:UNUSED_PAD src0_sel:WORD_1 src1_sel:DWORD
	v_pack_b32_f16 v5, v46, v41
	v_mul_f16_sdwa v4, v11, v42 dst_sel:DWORD dst_unused:UNUSED_PAD src0_sel:WORD_1 src1_sel:DWORD
	v_fma_f16 v10, v11, v42, -v47
	v_lshrrev_b32_e32 v42, 16, v8
	ds_write_b32 v40, v5
	v_fmac_f16_e32 v4, v11, v7
	v_mul_f16_sdwa v6, v13, v42 dst_sel:DWORD dst_unused:UNUSED_PAD src0_sel:WORD_1 src1_sel:DWORD
	s_waitcnt vmcnt(24)
	v_lshrrev_b32_e32 v11, 16, v14
	v_fma_f16 v7, v13, v42, -v45
	v_mul_f16_sdwa v41, v9, v14 dst_sel:DWORD dst_unused:UNUSED_PAD src0_sel:WORD_1 src1_sel:DWORD
	v_pack_b32_f16 v4, v4, v10
	v_fmac_f16_e32 v6, v13, v8
	v_mul_f16_sdwa v5, v9, v11 dst_sel:DWORD dst_unused:UNUSED_PAD src0_sel:WORD_1 src1_sel:DWORD
	s_waitcnt vmcnt(23)
	v_lshrrev_b32_e32 v8, 16, v16
	s_waitcnt vmcnt(22)
	v_mul_f16_sdwa v10, v17, v16 dst_sel:DWORD dst_unused:UNUSED_PAD src0_sel:WORD_1 src1_sel:DWORD
	v_fma_f16 v11, v9, v11, -v41
	v_pack_b32_f16 v6, v6, v7
	v_fmac_f16_e32 v5, v9, v14
	v_mul_f16_sdwa v7, v17, v8 dst_sel:DWORD dst_unused:UNUSED_PAD src0_sel:WORD_1 src1_sel:DWORD
	s_waitcnt vmcnt(18)
	v_lshrrev_b32_e32 v9, 16, v21
	v_fma_f16 v8, v17, v8, -v10
	v_mul_f16_sdwa v10, v18, v21 dst_sel:DWORD dst_unused:UNUSED_PAD src0_sel:WORD_1 src1_sel:DWORD
	ds_write2_b32 v43, v4, v6 offset0:13 offset1:26
	v_pack_b32_f16 v4, v5, v11
	v_fmac_f16_e32 v7, v17, v16
	v_mul_f16_sdwa v5, v18, v9 dst_sel:DWORD dst_unused:UNUSED_PAD src0_sel:WORD_1 src1_sel:DWORD
	s_waitcnt vmcnt(17)
	v_lshrrev_b32_e32 v6, 16, v22
	v_mul_f16_sdwa v11, v19, v22 dst_sel:DWORD dst_unused:UNUSED_PAD src0_sel:WORD_1 src1_sel:DWORD
	v_fma_f16 v9, v18, v9, -v10
	v_pack_b32_f16 v7, v7, v8
	v_fmac_f16_e32 v5, v18, v21
	v_mul_f16_sdwa v8, v19, v6 dst_sel:DWORD dst_unused:UNUSED_PAD src0_sel:WORD_1 src1_sel:DWORD
	s_waitcnt vmcnt(16)
	v_lshrrev_b32_e32 v10, 16, v23
	v_fma_f16 v6, v19, v6, -v11
	v_mul_f16_sdwa v11, v20, v23 dst_sel:DWORD dst_unused:UNUSED_PAD src0_sel:WORD_1 src1_sel:DWORD
	ds_write2_b32 v43, v4, v7 offset0:39 offset1:52
	v_pack_b32_f16 v4, v5, v9
	v_fmac_f16_e32 v8, v19, v22
	v_mul_f16_sdwa v5, v20, v10 dst_sel:DWORD dst_unused:UNUSED_PAD src0_sel:WORD_1 src1_sel:DWORD
	s_waitcnt vmcnt(14)
	v_lshrrev_b32_e32 v7, 16, v25
	v_mul_f16_sdwa v9, v24, v25 dst_sel:DWORD dst_unused:UNUSED_PAD src0_sel:WORD_1 src1_sel:DWORD
	v_fma_f16 v10, v20, v10, -v11
	v_pack_b32_f16 v6, v8, v6
	v_fmac_f16_e32 v5, v20, v23
	v_mul_f16_sdwa v8, v24, v7 dst_sel:DWORD dst_unused:UNUSED_PAD src0_sel:WORD_1 src1_sel:DWORD
	v_fma_f16 v7, v24, v7, -v9
	s_waitcnt vmcnt(13)
	v_lshrrev_b32_e32 v9, 16, v26
	s_waitcnt vmcnt(12)
	v_mul_f16_sdwa v11, v27, v26 dst_sel:DWORD dst_unused:UNUSED_PAD src0_sel:WORD_1 src1_sel:DWORD
	ds_write2_b32 v43, v4, v6 offset0:65 offset1:78
	v_pack_b32_f16 v4, v5, v10
	v_fmac_f16_e32 v8, v24, v25
	v_mul_f16_sdwa v5, v27, v9 dst_sel:DWORD dst_unused:UNUSED_PAD src0_sel:WORD_1 src1_sel:DWORD
	s_waitcnt vmcnt(8)
	v_lshrrev_b32_e32 v6, 16, v35
	v_mul_f16_sdwa v10, v28, v35 dst_sel:DWORD dst_unused:UNUSED_PAD src0_sel:WORD_1 src1_sel:DWORD
	v_fma_f16 v9, v27, v9, -v11
	v_pack_b32_f16 v7, v8, v7
	v_fmac_f16_e32 v5, v27, v26
	v_mul_f16_sdwa v8, v28, v6 dst_sel:DWORD dst_unused:UNUSED_PAD src0_sel:WORD_1 src1_sel:DWORD
	v_fma_f16 v6, v28, v6, -v10
	s_waitcnt vmcnt(7)
	v_lshrrev_b32_e32 v10, 16, v36
	v_mul_f16_sdwa v11, v33, v36 dst_sel:DWORD dst_unused:UNUSED_PAD src0_sel:WORD_1 src1_sel:DWORD
	v_pack_b32_f16 v5, v5, v9
	v_fmac_f16_e32 v8, v28, v35
	s_waitcnt vmcnt(6)
	v_lshrrev_b32_e32 v9, 16, v37
	v_mul_f16_sdwa v13, v33, v10 dst_sel:DWORD dst_unused:UNUSED_PAD src0_sel:WORD_1 src1_sel:DWORD
	v_fma_f16 v10, v33, v10, -v11
	v_mul_f16_sdwa v11, v34, v37 dst_sel:DWORD dst_unused:UNUSED_PAD src0_sel:WORD_1 src1_sel:DWORD
	v_pack_b32_f16 v6, v8, v6
	v_mul_f16_sdwa v8, v34, v9 dst_sel:DWORD dst_unused:UNUSED_PAD src0_sel:WORD_1 src1_sel:DWORD
	s_waitcnt vmcnt(5)
	v_lshrrev_b32_e32 v14, 16, v38
	s_waitcnt vmcnt(3)
	v_lshrrev_b32_e32 v16, 16, v0
	v_fma_f16 v9, v34, v9, -v11
	v_mul_f16_sdwa v11, v39, v38 dst_sel:DWORD dst_unused:UNUSED_PAD src0_sel:WORD_1 src1_sel:DWORD
	s_waitcnt vmcnt(2)
	v_lshrrev_b32_e32 v18, 16, v1
	v_mul_f16_sdwa v17, v39, v14 dst_sel:DWORD dst_unused:UNUSED_PAD src0_sel:WORD_1 src1_sel:DWORD
	s_waitcnt vmcnt(1)
	v_mul_f16_sdwa v19, v2, v16 dst_sel:DWORD dst_unused:UNUSED_PAD src0_sel:WORD_1 src1_sel:DWORD
	s_waitcnt vmcnt(0)
	v_mul_f16_sdwa v20, v3, v1 dst_sel:DWORD dst_unused:UNUSED_PAD src0_sel:WORD_1 src1_sel:DWORD
	v_fma_f16 v11, v39, v14, -v11
	v_mul_f16_sdwa v14, v2, v0 dst_sel:DWORD dst_unused:UNUSED_PAD src0_sel:WORD_1 src1_sel:DWORD
	v_mul_f16_sdwa v21, v3, v18 dst_sel:DWORD dst_unused:UNUSED_PAD src0_sel:WORD_1 src1_sel:DWORD
	v_fmac_f16_e32 v13, v33, v36
	v_fmac_f16_e32 v8, v34, v37
	;; [unrolled: 1-line block ×3, first 2 shown]
	v_fma_f16 v14, v2, v16, -v14
	v_fmac_f16_e32 v19, v2, v0
	v_fma_f16 v0, v3, v18, -v20
	v_fmac_f16_e32 v21, v3, v1
	v_pack_b32_f16 v1, v13, v10
	v_pack_b32_f16 v2, v8, v9
	v_pack_b32_f16 v3, v17, v11
	v_pack_b32_f16 v8, v19, v14
	v_pack_b32_f16 v0, v21, v0
	v_pack_b32_f16 v9, v48, v44
	ds_write2_b32 v43, v4, v7 offset0:91 offset1:104
	ds_write2_b32 v43, v5, v6 offset0:117 offset1:130
	ds_write2_b32 v43, v1, v2 offset0:143 offset1:156
	ds_write2_b32 v43, v3, v8 offset0:169 offset1:182
	ds_write2_b32 v43, v0, v9 offset0:195 offset1:208
.LBB0_3:
	s_or_b32 exec_lo, exec_lo, s1
	s_clause 0x1
	s_load_dwordx2 s[2:3], s[4:5], 0x20
	s_load_dwordx2 s[0:1], s[4:5], 0x8
	s_waitcnt lgkmcnt(0)
	s_barrier
	buffer_gl0_inv
                                        ; implicit-def: $vgpr0
                                        ; implicit-def: $vgpr5
                                        ; implicit-def: $vgpr33
                                        ; implicit-def: $vgpr2
                                        ; implicit-def: $vgpr28
                                        ; implicit-def: $vgpr27
                                        ; implicit-def: $vgpr6
                                        ; implicit-def: $vgpr26
                                        ; implicit-def: $vgpr25
                                        ; implicit-def: $vgpr8
                                        ; implicit-def: $vgpr24
                                        ; implicit-def: $vgpr23
                                        ; implicit-def: $vgpr21
                                        ; implicit-def: $vgpr22
                                        ; implicit-def: $vgpr39
                                        ; implicit-def: $vgpr11
                                        ; implicit-def: $vgpr40
                                        ; implicit-def: $vgpr41
                                        ; implicit-def: $vgpr18
                                        ; implicit-def: $vgpr42
                                        ; implicit-def: $vgpr43
                                        ; implicit-def: $vgpr20
                                        ; implicit-def: $vgpr44
                                        ; implicit-def: $vgpr45
                                        ; implicit-def: $vgpr46
	s_and_saveexec_b32 s4, vcc_lo
	s_cbranch_execz .LBB0_5
; %bb.4:
	v_lshl_add_u32 v13, v15, 2, v30
	ds_read2_b32 v[0:1], v13 offset1:13
	ds_read2_b32 v[19:20], v13 offset0:26 offset1:39
	ds_read2_b32 v[17:18], v13 offset0:52 offset1:65
	;; [unrolled: 1-line block ×7, first 2 shown]
	ds_read_b32 v21, v13 offset:832
	s_waitcnt lgkmcnt(8)
	v_lshrrev_b32_e32 v46, 16, v1
	s_waitcnt lgkmcnt(7)
	v_lshrrev_b32_e32 v45, 16, v19
	v_lshrrev_b32_e32 v44, 16, v20
	s_waitcnt lgkmcnt(6)
	v_lshrrev_b32_e32 v43, 16, v17
	;; [unrolled: 3-line block ×8, first 2 shown]
.LBB0_5:
	s_or_b32 exec_lo, exec_lo, s4
	v_sub_f16_e32 v90, v46, v22
	v_add_f16_e32 v47, v21, v1
	v_sub_f16_e32 v91, v45, v23
	v_add_f16_e32 v48, v9, v19
	v_sub_f16_e32 v93, v44, v24
	v_mul_f16_e32 v61, 0xb964, v90
	v_mul_f16_e32 v69, 0xbb29, v90
	;; [unrolled: 1-line block ×3, first 2 shown]
	v_add_f16_e32 v49, v8, v20
	v_mul_f16_e32 v71, 0xba62, v91
	v_fmamk_f16 v13, v47, 0x39e9, v61
	v_fmamk_f16 v14, v47, 0x3722, v69
	v_fmamk_f16 v16, v48, 0x2de8, v63
	v_mul_f16_e32 v64, 0xba62, v93
	v_sub_f16_e32 v97, v43, v25
	v_add_f16_e32 v13, v13, v0
	v_fmamk_f16 v34, v48, 0xb8d2, v71
	v_add_f16_e32 v14, v14, v0
	v_mul_f16_e32 v72, 0x31e1, v93
	v_add_f16_e32 v50, v7, v17
	v_add_f16_e32 v13, v16, v13
	v_fmamk_f16 v16, v49, 0xb8d2, v64
	v_mul_f16_e32 v66, 0xb1e1, v97
	v_sub_f16_e32 v103, v42, v26
	v_add_f16_e32 v14, v34, v14
	v_fmamk_f16 v34, v49, 0xbbdd, v72
	v_mul_f16_e32 v76, 0x3bb2, v97
	v_add_f16_e32 v13, v16, v13
	v_fmamk_f16 v16, v50, 0xbbdd, v66
	v_add_f16_e32 v51, v6, v18
	v_mul_f16_e32 v67, 0x3836, v103
	v_sub_f16_e32 v104, v41, v27
	v_add_f16_e32 v14, v34, v14
	v_fmamk_f16 v34, v50, 0xb461, v76
	v_mul_f16_e32 v77, 0x3964, v103
	v_add_f16_e32 v13, v16, v13
	v_fmamk_f16 v16, v51, 0xbacd, v67
	v_add_f16_e32 v52, v3, v10
	v_mul_f16_e32 v68, 0x3bb2, v104
	v_sub_f16_e32 v105, v40, v28
	v_add_f16_e32 v14, v34, v14
	v_fmamk_f16 v34, v51, 0x39e9, v77
	v_add_f16_e32 v13, v16, v13
	v_fmamk_f16 v16, v52, 0xb461, v68
	v_mul_f16_e32 v82, 0xb5c8, v104
	v_add_f16_e32 v53, v2, v11
	v_mul_f16_e32 v70, 0x3b29, v105
	v_sub_f16_e32 v96, v39, v33
	v_add_f16_e32 v14, v34, v14
	v_add_f16_e32 v13, v16, v13
	v_fmamk_f16 v16, v52, 0x3b76, v82
	v_mul_f16_e32 v83, 0xbbf7, v105
	v_fmamk_f16 v34, v53, 0x3722, v70
	v_add_f16_e32 v54, v5, v4
	v_mul_f16_e32 v73, 0x35c8, v96
	v_add_f16_e32 v14, v16, v14
	v_fmamk_f16 v16, v53, 0x2de8, v83
	v_add_f16_e32 v13, v34, v13
	v_sub_f16_e32 v123, v1, v21
	v_fmamk_f16 v34, v54, 0x3b76, v73
	v_mul_f16_e32 v74, 0xb5c8, v90
	v_add_f16_e32 v16, v16, v14
	v_mul_f16_e32 v81, 0xb836, v96
	v_add_f16_e32 v55, v22, v46
	v_add_f16_e32 v14, v34, v13
	v_mul_f16_e32 v78, 0xb5c8, v123
	v_sub_f16_e32 v129, v19, v9
	v_fmamk_f16 v34, v47, 0x3b76, v74
	v_mul_f16_e32 v75, 0xb964, v91
	v_fmamk_f16 v13, v54, 0xbacd, v81
	v_fma_f16 v35, v55, 0x3b76, -v78
	v_add_f16_e32 v56, v23, v45
	v_mul_f16_e32 v79, 0xb964, v129
	v_add_f16_e32 v34, v34, v0
	v_fmamk_f16 v36, v48, 0x39e9, v75
	v_mul_f16_e32 v100, 0xb964, v123
	v_add_f16_sdwa v35, v35, v0 dst_sel:DWORD dst_unused:UNUSED_PAD src0_sel:DWORD src1_sel:WORD_1
	v_fma_f16 v37, v56, 0x39e9, -v79
	v_add_f16_e32 v13, v13, v16
	v_add_f16_e32 v16, v36, v34
	v_fma_f16 v34, v55, 0x39e9, -v100
	v_mul_f16_e32 v113, 0xbb29, v123
	v_mul_f16_e32 v102, 0xbbf7, v129
	;; [unrolled: 1-line block ×3, first 2 shown]
	v_add_f16_e32 v35, v37, v35
	v_add_f16_sdwa v34, v34, v0 dst_sel:DWORD dst_unused:UNUSED_PAD src0_sel:DWORD src1_sel:WORD_1
	v_fma_f16 v36, v55, 0x3722, -v113
	v_mul_f16_e32 v116, 0xba62, v129
	v_fma_f16 v37, v56, 0x2de8, -v102
	v_fmamk_f16 v38, v47, 0x2de8, v152
	v_mul_f16_e32 v151, 0xb1e1, v91
	v_mul_f16_e32 v164, 0xbbf7, v123
	v_add_f16_sdwa v36, v36, v0 dst_sel:DWORD dst_unused:UNUSED_PAD src0_sel:DWORD src1_sel:WORD_1
	v_fma_f16 v57, v56, 0xb8d2, -v116
	v_add_f16_e32 v38, v38, v0
	v_fmamk_f16 v58, v48, 0xbbdd, v151
	v_add_f16_e32 v34, v37, v34
	v_fma_f16 v37, v55, 0x2de8, -v164
	v_mul_f16_e32 v187, 0xb1e1, v129
	v_sub_f16_e32 v138, v20, v8
	v_add_f16_e32 v36, v57, v36
	v_add_f16_e32 v38, v58, v38
	v_mul_f16_e32 v80, 0xbb29, v93
	v_add_f16_sdwa v37, v37, v0 dst_sel:DWORD dst_unused:UNUSED_PAD src0_sel:DWORD src1_sel:WORD_1
	v_fma_f16 v58, v56, 0xbbdd, -v187
	v_add_f16_e32 v57, v24, v44
	v_mul_f16_e32 v87, 0xbb29, v138
	v_fmamk_f16 v59, v49, 0x3722, v80
	v_mul_f16_e32 v109, 0xba62, v138
	v_add_f16_e32 v37, v58, v37
	v_mul_f16_e32 v173, 0x3bb2, v93
	v_fma_f16 v58, v57, 0x3722, -v87
	v_mul_f16_e32 v134, 0x31e1, v138
	v_add_f16_e32 v16, v59, v16
	v_fma_f16 v59, v57, 0xb8d2, -v109
	v_mul_f16_e32 v190, 0x3bb2, v138
	v_add_f16_e32 v35, v58, v35
	v_fmamk_f16 v58, v49, 0xb461, v173
	v_sub_f16_e32 v140, v17, v7
	v_fma_f16 v60, v57, 0xbbdd, -v134
	v_add_f16_e32 v34, v59, v34
	v_fma_f16 v59, v57, 0xb461, -v190
	v_mul_f16_e32 v84, 0xbbf7, v97
	v_add_f16_e32 v38, v58, v38
	v_add_f16_e32 v58, v25, v43
	v_mul_f16_e32 v89, 0xbbf7, v140
	v_add_f16_e32 v36, v60, v36
	v_add_f16_e32 v37, v59, v37
	v_fmamk_f16 v59, v50, 0x2de8, v84
	v_mul_f16_e32 v110, 0xb1e1, v140
	v_fma_f16 v60, v58, 0x2de8, -v89
	v_mul_f16_e32 v180, 0x35c8, v97
	v_mul_f16_e32 v150, 0x3bb2, v140
	v_add_f16_e32 v16, v59, v16
	v_fma_f16 v59, v58, 0xbbdd, -v110
	v_add_f16_e32 v35, v60, v35
	v_fmamk_f16 v60, v50, 0x3b76, v180
	v_mul_f16_e32 v192, 0x35c8, v140
	v_sub_f16_e32 v141, v18, v6
	v_fma_f16 v62, v58, 0xb461, -v150
	v_add_f16_e32 v34, v59, v34
	v_add_f16_e32 v38, v60, v38
	v_fma_f16 v60, v58, 0x3b76, -v192
	v_mul_f16_e32 v88, 0xbbb2, v103
	v_add_f16_e32 v59, v26, v42
	v_mul_f16_e32 v94, 0xbbb2, v141
	v_mul_f16_e32 v111, 0x3836, v141
	v_add_f16_e32 v36, v62, v36
	v_mul_f16_e32 v159, 0x3964, v141
	v_fmamk_f16 v62, v51, 0xb461, v88
	v_add_f16_e32 v37, v60, v37
	v_fma_f16 v60, v59, 0xb461, -v94
	v_fma_f16 v65, v59, 0xbacd, -v111
	v_mul_f16_e32 v186, 0xbb29, v103
	v_sub_f16_e32 v144, v10, v3
	v_mul_f16_e32 v92, 0xba62, v104
	v_fma_f16 v85, v59, 0x39e9, -v159
	v_add_f16_e32 v16, v62, v16
	v_add_f16_e32 v35, v60, v35
	;; [unrolled: 1-line block ×3, first 2 shown]
	v_fmamk_f16 v62, v51, 0x3722, v186
	v_mul_f16_e32 v194, 0xbb29, v141
	v_add_f16_e32 v60, v27, v41
	v_fmamk_f16 v65, v52, 0xb8d2, v92
	v_mul_f16_e32 v167, 0xb5c8, v144
	v_add_f16_e32 v36, v85, v36
	v_mul_f16_e32 v98, 0xba62, v144
	v_mul_f16_e32 v112, 0x3bb2, v144
	v_add_f16_e32 v38, v62, v38
	v_fma_f16 v62, v59, 0x3722, -v194
	v_add_f16_e32 v16, v65, v16
	v_fma_f16 v65, v60, 0x3b76, -v167
	v_sub_f16_e32 v162, v11, v2
	v_mul_f16_e32 v195, 0xb836, v144
	v_fma_f16 v85, v60, 0xb8d2, -v98
	v_fma_f16 v86, v60, 0xb461, -v112
	v_add_f16_e32 v37, v62, v37
	v_mul_f16_e32 v191, 0xb836, v104
	v_mul_f16_e32 v95, 0xb836, v105
	v_add_f16_e32 v62, v28, v40
	v_mul_f16_e32 v101, 0xb836, v162
	v_add_f16_e32 v36, v65, v36
	v_fma_f16 v65, v60, 0xbacd, -v195
	v_mul_f16_e32 v115, 0x3b29, v162
	v_add_f16_e32 v35, v85, v35
	v_add_f16_e32 v34, v86, v34
	v_fmamk_f16 v85, v52, 0xbacd, v191
	v_fmamk_f16 v86, v53, 0xbacd, v95
	v_fma_f16 v99, v62, 0xbacd, -v101
	v_add_f16_e32 v37, v65, v37
	v_fma_f16 v65, v62, 0x3722, -v115
	v_mul_f16_e32 v189, 0x3a62, v105
	v_mul_f16_e32 v196, 0x3a62, v162
	v_add_f16_e32 v38, v85, v38
	v_add_f16_e32 v16, v86, v16
	;; [unrolled: 1-line block ×3, first 2 shown]
	v_mul_f16_e32 v166, 0xbbf7, v162
	v_mul_f16_e32 v99, 0xb1e1, v96
	v_add_f16_e32 v86, v65, v34
	v_fmamk_f16 v34, v53, 0xb8d2, v189
	v_fma_f16 v65, v62, 0xb8d2, -v196
	v_sub_f16_e32 v197, v4, v5
	v_fma_f16 v85, v62, 0x2de8, -v166
	v_fmamk_f16 v106, v54, 0xbbdd, v99
	v_add_f16_e32 v108, v34, v38
	v_add_f16_e32 v38, v65, v37
	;; [unrolled: 1-line block ×3, first 2 shown]
	v_mul_f16_e32 v107, 0xb1e1, v197
	v_mul_f16_e32 v125, 0x35c8, v197
	;; [unrolled: 1-line block ×5, first 2 shown]
	v_add_f16_e32 v85, v85, v36
	v_add_f16_e32 v34, v106, v16
	v_fma_f16 v16, v65, 0xbbdd, -v107
	v_fma_f16 v36, v65, 0x3b76, -v125
	;; [unrolled: 1-line block ×4, first 2 shown]
	v_fmamk_f16 v114, v54, 0x39e9, v179
	v_add_f16_e32 v35, v16, v35
	v_add_f16_e32 v36, v36, v86
	v_add_f16_e32 v37, v37, v85
	v_add_f16_e32 v38, v106, v38
	v_add_f16_e32 v16, v114, v108
	s_barrier
	buffer_gl0_inv
	s_and_saveexec_b32 s4, vcc_lo
	s_cbranch_execz .LBB0_7
; %bb.6:
	v_mul_f16_e32 v137, 0xb1e1, v123
	v_mul_f16_e32 v135, 0x35c8, v129
	;; [unrolled: 1-line block ×5, first 2 shown]
	v_fmamk_f16 v85, v55, 0xbbdd, v137
	v_fmamk_f16 v106, v56, 0x3b76, v135
	v_fma_f16 v86, v47, 0xbbdd, -v128
	v_mul_f16_e32 v131, 0x3964, v140
	v_mul_f16_e32 v119, 0xb836, v93
	v_add_f16_sdwa v85, v85, v0 dst_sel:DWORD dst_unused:UNUSED_PAD src0_sel:DWORD src1_sel:WORD_1
	v_fma_f16 v108, v48, 0x3b76, -v127
	v_add_f16_e32 v86, v86, v0
	v_fmamk_f16 v114, v57, 0xbacd, v130
	v_mul_f16_e32 v126, 0xba62, v141
	v_add_f16_e32 v85, v106, v85
	v_mul_f16_e32 v120, 0x3964, v97
	v_fma_f16 v106, v49, 0xbacd, -v119
	v_add_f16_e32 v86, v108, v86
	v_fmamk_f16 v108, v58, 0x39e9, v131
	v_add_f16_e32 v85, v114, v85
	v_mul_f16_e32 v121, 0xba62, v103
	v_fma_f16 v114, v50, 0x39e9, -v120
	v_add_f16_e32 v86, v106, v86
	v_fmamk_f16 v106, v59, 0xb8d2, v126
	v_add_f16_e32 v85, v108, v85
	v_mul_f16_e32 v132, 0x3b29, v144
	v_fma_f16 v108, v51, 0xb8d2, -v121
	v_add_f16_e32 v86, v114, v86
	v_mul_f16_e32 v117, 0x3b29, v104
	v_add_f16_e32 v85, v106, v85
	v_fmamk_f16 v106, v60, 0x3722, v132
	v_mul_f16_e32 v142, 0xbbb2, v162
	v_add_f16_e32 v86, v108, v86
	v_fma_f16 v108, v52, 0x3722, -v117
	v_mul_f16_e32 v122, 0xbbb2, v105
	v_add_f16_e32 v85, v106, v85
	v_fmamk_f16 v106, v62, 0xb461, v142
	v_mul_f16_e32 v147, 0x3bf7, v197
	v_add_f16_e32 v86, v108, v86
	v_fma_f16 v108, v53, 0xb461, -v122
	;; [unrolled: 6-line block ×4, first 2 shown]
	v_mul_f16_e32 v156, 0x3b29, v91
	v_add_f16_sdwa v106, v106, v0 dst_sel:DWORD dst_unused:UNUSED_PAD src0_sel:DWORD src1_sel:WORD_1
	v_fmamk_f16 v114, v56, 0x3722, v175
	v_mul_f16_e32 v176, 0xbbf7, v138
	v_add_f16_e32 v108, v108, v0
	v_fma_f16 v118, v48, 0x3722, -v156
	v_mul_f16_e32 v146, 0xbbf7, v93
	v_add_f16_e32 v106, v114, v106
	v_fmamk_f16 v114, v57, 0x2de8, v176
	v_mul_f16_e32 v178, 0x3a62, v140
	v_mul_f16_e32 v172, 0xba62, v123
	v_add_f16_e32 v108, v118, v108
	v_fma_f16 v118, v49, 0x2de8, -v146
	v_mul_f16_e32 v148, 0x3a62, v97
	v_add_f16_e32 v106, v114, v106
	v_fmamk_f16 v114, v58, 0xb8d2, v178
	v_mul_f16_e32 v171, 0xb5c8, v141
	v_fmamk_f16 v136, v55, 0xb8d2, v172
	v_mul_f16_e32 v174, 0x3bb2, v129
	v_add_f16_e32 v108, v118, v108
	v_fma_f16 v118, v50, 0xb8d2, -v148
	v_mul_f16_e32 v133, 0xb5c8, v103
	v_add_f16_e32 v106, v114, v106
	v_fmamk_f16 v114, v59, 0x3b76, v171
	v_mul_f16_e32 v182, 0xb1e1, v144
	v_add_f16_sdwa v136, v136, v0 dst_sel:DWORD dst_unused:UNUSED_PAD src0_sel:DWORD src1_sel:WORD_1
	v_fmamk_f16 v139, v56, 0xb461, v174
	v_mul_f16_e32 v177, 0xb5c8, v138
	v_add_f16_e32 v108, v118, v108
	v_fma_f16 v118, v51, 0x3b76, -v133
	v_mul_f16_e32 v160, 0xb1e1, v104
	v_add_f16_e32 v106, v114, v106
	v_fmamk_f16 v114, v60, 0xbbdd, v182
	v_add_f16_e32 v136, v139, v136
	v_fmamk_f16 v139, v57, 0x3b76, v177
	v_mul_f16_e32 v168, 0xb836, v140
	v_mul_f16_e32 v181, 0x3964, v162
	v_add_f16_e32 v108, v118, v108
	v_fma_f16 v118, v52, 0xbbdd, -v160
	v_add_f16_e32 v106, v114, v106
	v_add_f16_e32 v114, v139, v136
	v_fmamk_f16 v136, v58, 0xbacd, v168
	v_mul_f16_e32 v169, 0x3bf7, v141
	v_fmamk_f16 v143, v62, 0x39e9, v181
	v_mul_f16_e32 v185, 0xbbb2, v197
	v_add_f16_e32 v108, v118, v108
	v_add_f16_e32 v118, v136, v114
	v_fmamk_f16 v136, v59, 0x2de8, v169
	v_mul_f16_e32 v170, 0xb964, v144
	v_mul_f16_e32 v163, 0x3964, v105
	v_add_f16_e32 v106, v143, v106
	v_fmamk_f16 v143, v65, 0xb461, v185
	v_add_f16_e32 v136, v136, v118
	v_fmamk_f16 v145, v60, 0x39e9, v170
	v_mul_f16_e32 v118, 0xb1e1, v162
	v_mul_f16_e32 v183, 0xba62, v90
	v_fma_f16 v139, v53, 0x39e9, -v163
	v_mul_f16_e32 v114, 0xbbb2, v96
	v_add_f16_e32 v136, v145, v136
	v_fmamk_f16 v145, v62, 0xbbdd, v118
	v_add_f16_e32 v106, v143, v106
	v_fma_f16 v143, v47, 0xb8d2, -v183
	v_mul_f16_e32 v184, 0x3bb2, v91
	v_add_f16_e32 v108, v139, v108
	v_fma_f16 v139, v54, 0xb461, -v114
	v_add_f16_e32 v165, v145, v136
	v_mul_f16_e32 v136, 0xbbb2, v123
	v_add_f16_e32 v123, v143, v0
	v_fma_f16 v143, v48, 0xb461, -v184
	v_mul_f16_e32 v188, 0xb5c8, v93
	v_add_f16_e32 v108, v139, v108
	v_fmamk_f16 v154, v55, 0xb461, v136
	v_mul_f16_e32 v139, 0x3836, v129
	v_add_f16_e32 v123, v143, v123
	v_fma_f16 v129, v49, 0x3b76, -v188
	v_mul_f16_e32 v153, 0xb836, v97
	v_add_f16_sdwa v143, v154, v0 dst_sel:DWORD dst_unused:UNUSED_PAD src0_sel:DWORD src1_sel:WORD_1
	v_fmamk_f16 v154, v56, 0xbacd, v139
	v_mul_f16_e32 v138, 0x3964, v138
	v_add_f16_e32 v123, v129, v123
	v_fma_f16 v129, v50, 0xbacd, -v153
	v_mul_f16_e32 v157, 0x3bf7, v103
	v_add_f16_e32 v143, v154, v143
	v_fmamk_f16 v154, v57, 0x39e9, v138
	v_mul_f16_e32 v158, 0xb964, v104
	v_add_f16_e32 v123, v129, v123
	v_fma_f16 v129, v51, 0x2de8, -v157
	v_mul_f16_e32 v140, 0xbb29, v140
	v_add_f16_e32 v198, v154, v143
	v_mul_f16_e32 v154, 0xb1e1, v105
	v_mul_f16_e32 v143, 0xb1e1, v141
	v_add_f16_e32 v123, v129, v123
	v_fma_f16 v129, v52, 0x39e9, -v158
	v_fmamk_f16 v199, v58, 0x3722, v140
	v_fma_f16 v200, v53, 0xbbdd, -v154
	v_mul_f16_e32 v145, 0x3b29, v197
	v_mul_f16_e32 v141, 0x3bf7, v144
	v_add_f16_e32 v123, v129, v123
	v_mul_f16_e32 v129, 0x3b29, v96
	v_add_f16_e32 v198, v199, v198
	v_fmamk_f16 v199, v59, 0xbbdd, v143
	v_mul_f16_e32 v144, 0xb5c8, v162
	v_add_f16_e32 v123, v200, v123
	v_fma_f16 v200, v54, 0x3722, -v129
	v_fmamk_f16 v201, v65, 0x3722, v145
	v_add_f16_e32 v198, v199, v198
	v_fmamk_f16 v199, v60, 0x2de8, v141
	v_mul_f16_e32 v162, 0xbbb2, v90
	v_add_f16_e32 v123, v200, v123
	v_mul_f16_e32 v200, 0x2de8, v55
	v_add_f16_e32 v90, v201, v165
	v_add_f16_e32 v198, v199, v198
	v_fmamk_f16 v199, v62, 0x3b76, v144
	v_mul_f16_e32 v165, 0x3836, v91
	v_mul_f16_e32 v91, 0xbbdd, v56
	v_add_f16_e32 v200, v164, v200
	v_mul_f16_e32 v164, 0xba62, v197
	v_add_f16_e32 v198, v199, v198
	v_fma_f16 v199, v47, 0xb461, -v162
	v_add_f16_e32 v91, v187, v91
	v_add_f16_sdwa v187, v200, v0 dst_sel:DWORD dst_unused:UNUSED_PAD src0_sel:DWORD src1_sel:WORD_1
	v_fmamk_f16 v200, v65, 0xb8d2, v164
	v_mul_f16_e32 v201, 0xb461, v57
	v_add_f16_e32 v197, v199, v0
	v_fma_f16 v199, v48, 0xbacd, -v165
	v_mul_f16_e32 v93, 0x3964, v93
	v_add_f16_e32 v187, v91, v187
	v_add_f16_e32 v190, v190, v201
	;; [unrolled: 1-line block ×3, first 2 shown]
	v_mul_f16_e32 v198, 0x3b76, v58
	v_add_f16_e32 v197, v199, v197
	v_fma_f16 v199, v49, 0x39e9, -v93
	v_mul_f16_e32 v97, 0xbb29, v97
	v_add_f16_e32 v187, v190, v187
	v_add_f16_e32 v190, v192, v198
	v_mul_f16_e32 v192, 0x3722, v59
	v_mul_f16_e32 v198, 0x2de8, v47
	v_add_f16_e32 v197, v199, v197
	v_fma_f16 v199, v50, 0x3722, -v97
	v_mul_f16_e32 v103, 0xb1e1, v103
	v_add_f16_e32 v187, v190, v187
	v_add_f16_e32 v190, v194, v192
	v_mul_f16_e32 v192, 0xbbdd, v48
	v_sub_f16_e32 v152, v198, v152
	v_add_f16_e32 v197, v199, v197
	v_fma_f16 v199, v51, 0xbbdd, -v103
	v_add_f16_e32 v187, v190, v187
	v_sub_f16_e32 v151, v192, v151
	v_add_f16_e32 v152, v152, v0
	v_mul_f16_e32 v192, 0xb461, v49
	v_add_f16_e32 v194, v199, v197
	v_mul_f16_e32 v197, 0xbacd, v60
	v_mul_f16_e32 v104, 0x3bf7, v104
	v_add_f16_e32 v151, v151, v152
	v_sub_f16_e32 v152, v192, v173
	v_mul_f16_e32 v192, 0x3b76, v50
	v_add_f16_e32 v190, v195, v197
	v_mul_f16_e32 v195, 0xb8d2, v56
	v_fma_f16 v198, v52, 0x2de8, -v104
	v_add_f16_e32 v151, v152, v151
	v_sub_f16_e32 v152, v192, v180
	v_mul_f16_e32 v180, 0x3722, v55
	v_add_f16_e32 v187, v190, v187
	v_mul_f16_e32 v190, 0xb8d2, v62
	v_mul_f16_e32 v192, 0x3722, v51
	v_add_f16_e32 v151, v152, v151
	v_add_f16_e32 v113, v113, v180
	;; [unrolled: 1-line block ×4, first 2 shown]
	v_sub_f16_e32 v152, v192, v186
	v_mul_f16_e32 v180, 0xbbdd, v57
	v_add_f16_sdwa v113, v113, v0 dst_sel:DWORD dst_unused:UNUSED_PAD src0_sel:DWORD src1_sel:WORD_1
	v_mul_f16_e32 v105, 0xb5c8, v105
	v_add_f16_e32 v186, v190, v187
	v_add_f16_e32 v151, v152, v151
	v_mul_f16_e32 v152, 0xbacd, v52
	v_add_f16_e32 v113, v116, v113
	v_add_f16_e32 v116, v134, v180
	v_mul_f16_e32 v134, 0xb461, v58
	v_mul_f16_e32 v187, 0x3722, v47
	v_sub_f16_e32 v152, v152, v191
	v_mul_f16_e32 v180, 0x39e9, v65
	v_add_f16_e32 v113, v116, v113
	v_add_f16_e32 v116, v150, v134
	v_mul_f16_e32 v150, 0xb8d2, v48
	v_sub_f16_e32 v69, v187, v69
	v_add_f16_e32 v151, v152, v151
	v_mul_f16_e32 v152, 0x39e9, v59
	v_add_f16_e32 v173, v198, v194
	v_sub_f16_e32 v71, v150, v71
	v_add_f16_e32 v69, v69, v0
	v_mul_f16_e32 v150, 0xbbdd, v49
	v_fma_f16 v194, v53, 0x3b76, -v105
	v_add_f16_e32 v134, v193, v180
	v_mul_f16_e32 v180, 0xb8d2, v53
	v_add_f16_e32 v113, v116, v113
	v_add_f16_e32 v116, v159, v152
	;; [unrolled: 1-line block ×3, first 2 shown]
	v_mul_f16_e32 v69, 0xba62, v96
	v_sub_f16_e32 v72, v150, v72
	v_mul_f16_e32 v150, 0xb461, v50
	v_add_f16_e32 v173, v194, v173
	v_sub_f16_e32 v152, v180, v189
	v_mul_f16_e32 v96, 0x3b76, v60
	v_add_f16_e32 v113, v116, v113
	v_fma_f16 v116, v54, 0xb8d2, -v69
	v_sub_f16_e32 v76, v150, v76
	v_mul_f16_e32 v150, 0x39e9, v55
	v_add_f16_e32 v96, v167, v96
	v_add_f16_e32 v72, v72, v71
	;; [unrolled: 1-line block ×5, first 2 shown]
	v_mul_f16_e32 v151, 0x2de8, v56
	v_add_f16_e32 v100, v100, v150
	v_add_f16_e32 v96, v96, v113
	v_mul_f16_e32 v113, 0x39e9, v51
	v_add_f16_e32 v72, v76, v72
	v_add_f16_e32 v102, v102, v151
	v_add_f16_sdwa v100, v100, v0 dst_sel:DWORD dst_unused:UNUSED_PAD src0_sel:DWORD src1_sel:WORD_1
	v_mul_f16_e32 v76, 0xb8d2, v57
	v_sub_f16_e32 v77, v113, v77
	v_fmac_f16_e32 v128, 0xbbdd, v47
	v_fmac_f16_e32 v127, 0x3b76, v48
	v_add_f16_e32 v100, v102, v100
	v_mul_f16_e32 v102, 0x3b76, v52
	v_add_f16_e32 v76, v109, v76
	v_mul_f16_e32 v109, 0xbbdd, v58
	v_add_f16_e32 v72, v77, v72
	v_fmac_f16_e32 v119, 0xbacd, v49
	v_sub_f16_e32 v77, v102, v82
	v_add_f16_e32 v76, v76, v100
	v_add_f16_e32 v82, v110, v109
	v_mul_f16_e32 v102, 0xbacd, v59
	v_mul_f16_e32 v109, 0x2de8, v53
	v_add_f16_e32 v72, v77, v72
	v_mul_f16_e32 v77, 0x39e9, v47
	v_add_f16_e32 v76, v82, v76
	v_mul_f16_e32 v82, 0x2de8, v48
	v_sub_f16_e32 v83, v109, v83
	v_fmac_f16_e32 v120, 0x39e9, v50
	v_sub_f16_e32 v61, v77, v61
	v_add_f16_e32 v77, v111, v102
	v_sub_f16_e32 v63, v82, v63
	v_mul_f16_e32 v82, 0xb8d2, v49
	v_mul_f16_e32 v102, 0xb461, v60
	v_add_f16_e32 v61, v61, v0
	v_add_f16_e32 v76, v77, v76
	;; [unrolled: 1-line block ×3, first 2 shown]
	v_fmac_f16_e32 v121, 0xb8d2, v51
	v_add_f16_e32 v102, v112, v102
	v_add_f16_e32 v61, v63, v61
	v_sub_f16_e32 v63, v82, v64
	v_mul_f16_e32 v64, 0xbbdd, v50
	v_mul_f16_e32 v82, 0x3722, v62
	v_fmac_f16_e32 v117, 0x3722, v52
	v_fmac_f16_e32 v155, 0xbacd, v47
	v_add_f16_e32 v61, v63, v61
	v_sub_f16_e32 v63, v64, v66
	v_mul_f16_e32 v66, 0xbacd, v51
	v_add_f16_e32 v64, v102, v76
	v_mul_f16_e32 v76, 0xbacd, v54
	v_add_f16_e32 v82, v115, v82
	v_add_f16_e32 v61, v63, v61
	v_sub_f16_e32 v66, v66, v67
	v_mul_f16_e32 v63, 0x3b76, v65
	v_sub_f16_e32 v67, v76, v81
	v_mul_f16_e32 v76, 0xb461, v52
	v_mul_f16_e32 v81, 0x39e9, v56
	v_add_f16_e32 v61, v66, v61
	v_mul_f16_e32 v66, 0x3b76, v55
	v_add_f16_e32 v67, v67, v72
	v_sub_f16_e32 v68, v76, v68
	v_mul_f16_e32 v72, 0x3722, v53
	v_add_f16_e32 v64, v82, v64
	v_add_f16_e32 v66, v78, v66
	v_mul_f16_e32 v78, 0x3722, v57
	v_add_f16_e32 v61, v68, v61
	v_add_f16_e32 v68, v79, v81
	v_sub_f16_e32 v70, v72, v70
	v_add_f16_sdwa v66, v66, v0 dst_sel:DWORD dst_unused:UNUSED_PAD src0_sel:DWORD src1_sel:WORD_1
	v_add_f16_e32 v63, v125, v63
	v_mul_f16_e32 v72, 0x2de8, v58
	v_mul_f16_e32 v79, 0xbacd, v53
	v_add_f16_e32 v61, v70, v61
	v_add_f16_e32 v66, v68, v66
	;; [unrolled: 1-line block ×3, first 2 shown]
	v_mul_f16_e32 v70, 0x3b76, v47
	v_add_f16_e32 v63, v63, v64
	v_mul_f16_e32 v64, 0x3b76, v54
	v_add_f16_e32 v72, v89, v72
	v_add_f16_e32 v66, v68, v66
	v_mul_f16_e32 v68, 0x39e9, v48
	v_sub_f16_e32 v70, v70, v74
	v_sub_f16_e32 v64, v64, v73
	v_mul_f16_e32 v73, 0x3722, v49
	v_mul_f16_e32 v74, 0xb461, v59
	v_sub_f16_e32 v68, v68, v75
	v_add_f16_e32 v70, v70, v0
	v_mul_f16_e32 v75, 0x2de8, v50
	v_add_f16_e32 v66, v72, v66
	v_add_f16_e32 v74, v94, v74
	v_sub_f16_e32 v73, v73, v80
	v_add_f16_e32 v68, v68, v70
	v_mul_f16_e32 v70, 0xb8d2, v60
	v_mul_f16_e32 v72, 0xb461, v51
	v_add_f16_e32 v66, v74, v66
	v_mul_f16_e32 v74, 0xbacd, v62
	v_add_f16_e32 v68, v73, v68
	v_add_f16_e32 v70, v98, v70
	v_sub_f16_e32 v75, v75, v84
	v_mul_f16_e32 v78, 0xb8d2, v52
	v_mul_f16_e32 v73, 0xbbdd, v65
	v_add_f16_e32 v61, v64, v61
	v_fma_f16 v64, v55, 0xbbdd, -v137
	v_add_f16_e32 v66, v70, v66
	v_add_f16_e32 v70, v101, v74
	;; [unrolled: 1-line block ×3, first 2 shown]
	v_sub_f16_e32 v72, v72, v88
	v_add_f16_sdwa v64, v64, v0 dst_sel:DWORD dst_unused:UNUSED_PAD src0_sel:DWORD src1_sel:WORD_1
	v_fma_f16 v74, v56, 0x3b76, -v135
	v_add_f16_e32 v66, v70, v66
	v_add_f16_e32 v70, v107, v73
	;; [unrolled: 1-line block ×3, first 2 shown]
	v_sub_f16_e32 v72, v78, v92
	v_mul_f16_e32 v80, 0xbbdd, v54
	v_add_f16_e32 v64, v74, v64
	v_fma_f16 v73, v57, 0xbacd, -v130
	v_add_f16_e32 v66, v70, v66
	v_add_f16_e32 v68, v72, v68
	v_sub_f16_e32 v70, v79, v95
	v_fma_f16 v72, v58, 0x39e9, -v131
	v_add_f16_e32 v64, v73, v64
	v_add_f16_e32 v73, v128, v0
	v_fma_f16 v74, v56, 0x3722, -v175
	v_add_f16_e32 v68, v70, v68
	v_sub_f16_e32 v70, v80, v99
	v_add_f16_e32 v64, v72, v64
	v_fma_f16 v72, v59, 0xb8d2, -v126
	v_add_f16_e32 v73, v127, v73
	v_fmac_f16_e32 v156, 0x3722, v48
	v_add_f16_e32 v68, v70, v68
	v_fma_f16 v70, v55, 0xbacd, -v161
	v_add_f16_e32 v64, v72, v64
	v_fma_f16 v72, v60, 0x3722, -v132
	v_add_f16_e32 v73, v119, v73
	v_fmac_f16_e32 v146, 0x2de8, v49
	v_add_f16_sdwa v70, v70, v0 dst_sel:DWORD dst_unused:UNUSED_PAD src0_sel:DWORD src1_sel:WORD_1
	v_fma_f16 v75, v55, 0xb8d2, -v172
	v_add_f16_e32 v64, v72, v64
	v_fma_f16 v72, v62, 0xb461, -v142
	v_add_f16_e32 v73, v120, v73
	v_add_f16_e32 v70, v74, v70
	v_fma_f16 v74, v57, 0x2de8, -v176
	v_fmac_f16_e32 v148, 0xb8d2, v50
	v_add_f16_e32 v64, v72, v64
	v_fma_f16 v72, v65, 0x2de8, -v147
	v_add_f16_e32 v73, v121, v73
	v_add_f16_e32 v70, v74, v70
	v_fma_f16 v74, v58, 0xb8d2, -v178
	v_add_f16_sdwa v75, v75, v0 dst_sel:DWORD dst_unused:UNUSED_PAD src0_sel:DWORD src1_sel:WORD_1
	v_add_f16_e32 v64, v72, v64
	v_add_f16_e32 v72, v117, v73
	v_fma_f16 v73, v59, 0x3b76, -v171
	v_add_f16_e32 v70, v74, v70
	v_add_f16_e32 v74, v155, v0
	v_fma_f16 v78, v56, 0xb461, -v174
	v_fmac_f16_e32 v133, 0x3b76, v51
	v_fmac_f16_e32 v183, 0xb8d2, v47
	v_add_f16_e32 v70, v73, v70
	v_fma_f16 v73, v60, 0xbbdd, -v182
	v_add_f16_e32 v74, v156, v74
	v_add_f16_e32 v75, v78, v75
	v_fma_f16 v78, v57, 0x3b76, -v177
	v_fmac_f16_e32 v184, 0xb461, v48
	v_add_f16_e32 v70, v73, v70
	v_fma_f16 v73, v62, 0x39e9, -v181
	v_add_f16_e32 v74, v146, v74
	v_add_f16_sdwa v46, v46, v0 dst_sel:DWORD dst_unused:UNUSED_PAD src0_sel:DWORD src1_sel:WORD_1
	v_add_f16_e32 v1, v1, v0
	v_fmac_f16_e32 v188, 0x3b76, v49
	v_add_f16_e32 v70, v73, v70
	v_fma_f16 v73, v65, 0xb461, -v185
	v_add_f16_e32 v74, v148, v74
	v_add_f16_e32 v45, v45, v46
	;; [unrolled: 1-line block ×3, first 2 shown]
	v_fmac_f16_e32 v153, 0xbacd, v50
	v_add_f16_e32 v70, v73, v70
	v_add_f16_e32 v73, v133, v74
	;; [unrolled: 1-line block ×4, first 2 shown]
	v_fma_f16 v75, v58, 0xbacd, -v168
	v_add_f16_e32 v44, v44, v45
	v_add_f16_e32 v1, v20, v1
	v_fmac_f16_e32 v157, 0x2de8, v51
	v_add_f16_e32 v78, v184, v78
	v_add_f16_e32 v74, v75, v74
	v_fma_f16 v75, v59, 0x2de8, -v169
	v_add_f16_e32 v43, v43, v44
	v_add_f16_e32 v1, v17, v1
	;; [unrolled: 1-line block ×3, first 2 shown]
	v_fmac_f16_e32 v158, 0x39e9, v52
	v_add_f16_e32 v74, v75, v74
	v_fma_f16 v75, v60, 0x39e9, -v170
	v_add_f16_e32 v42, v42, v43
	v_add_f16_e32 v19, v153, v78
	;; [unrolled: 1-line block ×3, first 2 shown]
	v_fma_f16 v17, v65, 0x3722, -v145
	v_add_f16_e32 v74, v75, v74
	v_fma_f16 v75, v62, 0xbbdd, -v118
	v_add_f16_e32 v19, v157, v19
	v_fma_f16 v44, v55, 0xb461, -v136
	v_fmac_f16_e32 v154, 0xbbdd, v53
	v_add_f16_e32 v41, v41, v42
	v_add_f16_e32 v20, v75, v74
	;; [unrolled: 1-line block ×4, first 2 shown]
	v_add_f16_sdwa v18, v44, v0 dst_sel:DWORD dst_unused:UNUSED_PAD src0_sel:DWORD src1_sel:WORD_1
	v_fma_f16 v43, v56, 0xbacd, -v139
	v_add_f16_e32 v10, v17, v20
	v_add_f16_e32 v17, v154, v19
	;; [unrolled: 1-line block ×5, first 2 shown]
	v_fma_f16 v11, v57, 0x39e9, -v138
	v_fmac_f16_e32 v162, 0xb461, v47
	v_add_f16_e32 v19, v39, v19
	v_add_f16_e32 v1, v4, v1
	v_fmac_f16_e32 v165, 0xbacd, v48
	v_add_f16_e32 v4, v11, v18
	v_fma_f16 v11, v58, 0x3722, -v140
	v_add_f16_e32 v18, v33, v19
	v_add_f16_e32 v1, v5, v1
	v_fma_f16 v5, v59, 0xbbdd, -v143
	v_add_f16_e32 v0, v162, v0
	v_add_f16_e32 v4, v11, v4
	;; [unrolled: 1-line block ×4, first 2 shown]
	v_fmac_f16_e32 v93, 0x39e9, v49
	v_add_f16_e32 v0, v165, v0
	v_add_f16_e32 v2, v5, v4
	;; [unrolled: 1-line block ×4, first 2 shown]
	v_fma_f16 v3, v60, 0x2de8, -v141
	v_add_f16_e32 v0, v93, v0
	v_fmac_f16_e32 v97, 0x3722, v50
	v_add_f16_e32 v4, v26, v4
	v_add_f16_e32 v1, v6, v1
	;; [unrolled: 1-line block ×3, first 2 shown]
	v_fma_f16 v3, v62, 0x3b76, -v144
	v_mul_f16_e32 v150, 0x2de8, v62
	v_add_f16_e32 v4, v25, v4
	v_add_f16_e32 v1, v7, v1
	;; [unrolled: 1-line block ×3, first 2 shown]
	v_fmac_f16_e32 v103, 0xbbdd, v51
	v_add_f16_e32 v2, v3, v2
	v_add_f16_e32 v3, v24, v4
	;; [unrolled: 1-line block ×3, first 2 shown]
	v_fmac_f16_e32 v160, 0xbbdd, v52
	v_add_f16_e32 v113, v166, v150
	v_mul_f16_e32 v150, 0x39e9, v54
	v_mul_f16_e32 v77, 0xbacd, v65
	v_add_f16_e32 v0, v103, v0
	v_fmac_f16_e32 v104, 0x2de8, v52
	v_add_f16_e32 v3, v23, v3
	v_add_f16_e32 v1, v9, v1
	v_mul_lo_u16 v6, v31, 17
	v_fmac_f16_e32 v122, 0xb461, v53
	v_add_f16_e32 v73, v160, v73
	v_fmac_f16_e32 v163, 0x39e9, v53
	v_sub_f16_e32 v100, v150, v179
	v_add_f16_e32 v96, v113, v96
	v_add_f16_e32 v77, v149, v77
	;; [unrolled: 1-line block ×3, first 2 shown]
	v_fmac_f16_e32 v105, 0x3b76, v53
	v_add_f16_sdwa v3, v22, v3 dst_sel:WORD_1 dst_unused:UNUSED_PAD src0_sel:DWORD src1_sel:DWORD
	v_add_f16_e32 v1, v21, v1
	v_and_b32_e32 v6, 0xffff, v6
	v_add_f16_e32 v72, v122, v72
	v_fmac_f16_e32 v124, 0x2de8, v54
	v_add_f16_e32 v73, v163, v73
	v_fmac_f16_e32 v114, 0xb461, v54
	v_fma_f16 v4, v65, 0xb8d2, -v164
	v_add_f16_e32 v76, v100, v134
	v_add_f16_e32 v77, v77, v96
	v_fmac_f16_e32 v129, 0x3722, v54
	v_add_f16_e32 v0, v105, v0
	v_fmac_f16_e32 v69, 0xb8d2, v54
	v_or_b32_sdwa v1, v3, v1 dst_sel:DWORD dst_unused:UNUSED_PAD src0_sel:DWORD src1_sel:WORD_0
	v_add_lshl_u32 v3, v15, v6, 2
	v_add_f16_e32 v72, v124, v72
	v_add_f16_e32 v46, v114, v73
	;; [unrolled: 1-line block ×3, first 2 shown]
	v_pack_b32_f16 v4, v61, v63
	v_pack_b32_f16 v6, v68, v66
	v_add_f16_e32 v5, v129, v17
	v_pack_b32_f16 v7, v76, v116
	v_pack_b32_f16 v8, v67, v77
	v_add_f16_e32 v0, v69, v0
	v_pack_b32_f16 v9, v123, v90
	v_pack_b32_f16 v11, v71, v91
	ds_write_b32 v3, v1
	ds_write2_b32 v3, v6, v4 offset0:1 offset1:2
	ds_write2_b32 v3, v8, v7 offset0:3 offset1:4
	;; [unrolled: 1-line block ×3, first 2 shown]
	v_pack_b32_f16 v1, v86, v85
	v_pack_b32_f16 v4, v108, v106
	;; [unrolled: 1-line block ×6, first 2 shown]
	v_perm_b32 v5, v37, v13, 0x5040100
	v_perm_b32 v8, v38, v16, 0x5040100
	;; [unrolled: 1-line block ×4, first 2 shown]
	ds_write2_b32 v3, v4, v1 offset0:7 offset1:8
	ds_write2_b32 v3, v7, v6 offset0:9 offset1:10
	;; [unrolled: 1-line block ×5, first 2 shown]
.LBB0_7:
	s_or_b32 exec_lo, exec_lo, s4
	v_mul_u32_u24_e32 v0, 12, v31
	s_load_dwordx4 s[4:7], s[2:3], 0x0
	s_waitcnt lgkmcnt(0)
	s_barrier
	buffer_gl0_inv
	v_lshlrev_b32_e32 v0, 2, v0
	v_add_lshl_u32 v39, v15, v31, 2
	s_clause 0x2
	global_load_dwordx4 v[8:11], v0, s[0:1]
	global_load_dwordx4 v[4:7], v0, s[0:1] offset:16
	global_load_dwordx4 v[0:3], v0, s[0:1] offset:32
	ds_read2_b32 v[17:18], v39 offset1:17
	ds_read2_b32 v[26:27], v39 offset0:34 offset1:51
	ds_read2_b32 v[44:45], v39 offset0:68 offset1:85
	;; [unrolled: 1-line block ×5, first 2 shown]
	ds_read_b32 v52, v39 offset:816
	s_waitcnt lgkmcnt(6)
	v_lshrrev_b32_e32 v20, 16, v18
	s_waitcnt lgkmcnt(5)
	v_lshrrev_b32_e32 v28, 16, v26
	;; [unrolled: 2-line block ×4, first 2 shown]
	v_lshrrev_b32_e32 v33, 16, v27
	v_lshrrev_b32_e32 v40, 16, v44
	s_waitcnt lgkmcnt(0)
	v_lshrrev_b32_e32 v60, 16, v52
	v_lshrrev_b32_e32 v57, 16, v49
	;; [unrolled: 1-line block ×6, first 2 shown]
	s_waitcnt vmcnt(2)
	v_mul_f16_sdwa v43, v20, v8 dst_sel:DWORD dst_unused:UNUSED_PAD src0_sel:DWORD src1_sel:WORD_1
	v_mul_f16_sdwa v61, v18, v8 dst_sel:DWORD dst_unused:UNUSED_PAD src0_sel:DWORD src1_sel:WORD_1
	;; [unrolled: 1-line block ×4, first 2 shown]
	s_waitcnt vmcnt(1)
	v_mul_f16_sdwa v67, v53, v4 dst_sel:DWORD dst_unused:UNUSED_PAD src0_sel:DWORD src1_sel:WORD_1
	v_mul_f16_sdwa v68, v54, v5 dst_sel:DWORD dst_unused:UNUSED_PAD src0_sel:DWORD src1_sel:WORD_1
	v_fma_f16 v75, v18, v8, -v43
	v_fmac_f16_e32 v61, v20, v8
	v_mul_f16_sdwa v64, v33, v10 dst_sel:DWORD dst_unused:UNUSED_PAD src0_sel:DWORD src1_sel:WORD_1
	v_mul_f16_sdwa v65, v27, v10 dst_sel:DWORD dst_unused:UNUSED_PAD src0_sel:DWORD src1_sel:WORD_1
	;; [unrolled: 1-line block ×4, first 2 shown]
	s_waitcnt vmcnt(0)
	v_mul_f16_sdwa v74, v60, v3 dst_sel:DWORD dst_unused:UNUSED_PAD src0_sel:DWORD src1_sel:WORD_1
	v_mul_f16_sdwa v24, v52, v3 dst_sel:DWORD dst_unused:UNUSED_PAD src0_sel:DWORD src1_sel:WORD_1
	v_fma_f16 v62, v26, v9, -v62
	v_fmac_f16_e32 v63, v28, v9
	v_fma_f16 v43, v45, v4, -v67
	v_fma_f16 v18, v46, v5, -v68
	v_add_f16_e32 v45, v75, v17
	v_add_f16_sdwa v46, v61, v17 dst_sel:DWORD dst_unused:UNUSED_PAD src0_sel:DWORD src1_sel:WORD_1
	v_mul_f16_sdwa v66, v40, v11 dst_sel:DWORD dst_unused:UNUSED_PAD src0_sel:DWORD src1_sel:WORD_1
	v_mul_f16_sdwa v42, v44, v11 dst_sel:DWORD dst_unused:UNUSED_PAD src0_sel:DWORD src1_sel:WORD_1
	;; [unrolled: 1-line block ×7, first 2 shown]
	v_fma_f16 v64, v27, v10, -v64
	v_fmac_f16_e32 v65, v33, v10
	v_fma_f16 v26, v52, v3, -v74
	v_fmac_f16_e32 v24, v60, v3
	v_add_f16_e32 v45, v45, v62
	v_add_f16_e32 v46, v46, v63
	v_mul_f16_sdwa v69, v55, v6 dst_sel:DWORD dst_unused:UNUSED_PAD src0_sel:DWORD src1_sel:WORD_1
	v_mul_f16_sdwa v70, v56, v7 dst_sel:DWORD dst_unused:UNUSED_PAD src0_sel:DWORD src1_sel:WORD_1
	v_mul_f16_sdwa v25, v48, v7 dst_sel:DWORD dst_unused:UNUSED_PAD src0_sel:DWORD src1_sel:WORD_1
	v_mul_f16_sdwa v22, v50, v1 dst_sel:DWORD dst_unused:UNUSED_PAD src0_sel:DWORD src1_sel:WORD_1
	v_fma_f16 v44, v44, v11, -v66
	v_fmac_f16_e32 v42, v40, v11
	v_fma_f16 v33, v49, v0, -v71
	v_fmac_f16_e32 v21, v57, v0
	v_fma_f16 v28, v50, v1, -v72
	v_fma_f16 v27, v51, v2, -v73
	v_fmac_f16_e32 v23, v59, v2
	v_sub_f16_e32 v49, v75, v26
	v_sub_f16_e32 v50, v61, v24
	v_add_f16_e32 v45, v45, v64
	v_add_f16_e32 v46, v46, v65
	v_mul_f16_sdwa v19, v47, v6 dst_sel:DWORD dst_unused:UNUSED_PAD src0_sel:DWORD src1_sel:WORD_1
	v_fmac_f16_e32 v41, v53, v4
	v_fmac_f16_e32 v15, v54, v5
	v_fma_f16 v20, v47, v6, -v69
	v_fma_f16 v40, v48, v7, -v70
	v_fmac_f16_e32 v25, v56, v7
	v_fmac_f16_e32 v22, v58, v1
	v_add_f16_e32 v47, v75, v26
	v_add_f16_e32 v48, v61, v24
	;; [unrolled: 1-line block ×4, first 2 shown]
	v_sub_f16_e32 v53, v62, v27
	v_sub_f16_e32 v54, v63, v23
	v_add_f16_e32 v59, v44, v33
	v_add_f16_e32 v60, v42, v21
	v_sub_f16_e32 v61, v44, v33
	v_sub_f16_e32 v66, v42, v21
	v_mul_f16_e32 v62, 0xb770, v50
	v_mul_f16_e32 v63, 0xb770, v49
	;; [unrolled: 1-line block ×12, first 2 shown]
	v_add_f16_e32 v44, v45, v44
	v_add_f16_e32 v42, v46, v42
	v_fmac_f16_e32 v19, v55, v6
	v_add_f16_e32 v55, v64, v28
	v_add_f16_e32 v56, v65, v22
	v_sub_f16_e32 v57, v64, v28
	v_sub_f16_e32 v58, v65, v22
	v_add_f16_e32 v67, v43, v40
	v_add_f16_e32 v68, v41, v25
	v_sub_f16_e32 v69, v43, v40
	v_sub_f16_e32 v70, v41, v25
	v_mul_f16_e32 v79, 0xba95, v54
	v_mul_f16_e32 v80, 0xba95, v53
	v_mul_f16_e32 v81, 0xbb7b, v54
	v_mul_f16_e32 v82, 0xbb7b, v53
	v_mul_f16_e32 v83, 0xb3a8, v54
	v_mul_f16_e32 v84, 0xb3a8, v53
	v_mul_f16_e32 v85, 0x394e, v54
	v_mul_f16_e32 v86, 0x394e, v53
	v_mul_f16_e32 v87, 0x3bf1, v54
	v_mul_f16_e32 v88, 0x3bf1, v53
	v_mul_f16_e32 v54, 0x3770, v54
	v_mul_f16_e32 v53, 0x3770, v53
	v_fma_f16 v64, v47, 0x3b15, -v62
	v_fmamk_f16 v65, v48, 0x3b15, v63
	v_fmac_f16_e32 v62, 0x3b15, v47
	v_fma_f16 v63, v48, 0x3b15, -v63
	v_fma_f16 v118, v47, 0x388b, -v71
	v_fmamk_f16 v119, v48, 0x388b, v72
	v_fmac_f16_e32 v71, 0x388b, v47
	v_fma_f16 v72, v48, 0x388b, -v72
	;; [unrolled: 4-line block ×6, first 2 shown]
	v_add_f16_e32 v43, v44, v43
	v_add_f16_e32 v41, v42, v41
	v_mul_f16_e32 v89, 0xbbf1, v58
	v_mul_f16_e32 v90, 0xbbf1, v57
	;; [unrolled: 1-line block ×12, first 2 shown]
	v_fma_f16 v48, v51, 0x388b, -v79
	v_fmac_f16_e32 v79, 0x388b, v51
	v_fma_f16 v128, v51, 0xb5ac, -v81
	v_fmac_f16_e32 v81, 0xb5ac, v51
	;; [unrolled: 2-line block ×6, first 2 shown]
	v_fma_f16 v51, v52, 0x3b15, -v53
	v_add_f16_e32 v45, v64, v17
	v_add_f16_sdwa v46, v65, v17 dst_sel:DWORD dst_unused:UNUSED_PAD src0_sel:DWORD src1_sel:WORD_1
	v_add_f16_e32 v62, v62, v17
	v_add_f16_sdwa v63, v63, v17 dst_sel:DWORD dst_unused:UNUSED_PAD src0_sel:DWORD src1_sel:WORD_1
	v_add_f16_e32 v64, v118, v17
	v_add_f16_sdwa v65, v119, v17 dst_sel:DWORD dst_unused:UNUSED_PAD src0_sel:DWORD src1_sel:WORD_1
	v_add_f16_e32 v71, v71, v17
	v_add_f16_sdwa v72, v72, v17 dst_sel:DWORD dst_unused:UNUSED_PAD src0_sel:DWORD src1_sel:WORD_1
	v_add_f16_e32 v118, v120, v17
	v_add_f16_sdwa v119, v121, v17 dst_sel:DWORD dst_unused:UNUSED_PAD src0_sel:DWORD src1_sel:WORD_1
	v_add_f16_e32 v73, v73, v17
	v_add_f16_sdwa v74, v74, v17 dst_sel:DWORD dst_unused:UNUSED_PAD src0_sel:DWORD src1_sel:WORD_1
	v_add_f16_e32 v120, v122, v17
	v_add_f16_sdwa v121, v123, v17 dst_sel:DWORD dst_unused:UNUSED_PAD src0_sel:DWORD src1_sel:WORD_1
	v_add_f16_e32 v75, v75, v17
	v_add_f16_sdwa v76, v76, v17 dst_sel:DWORD dst_unused:UNUSED_PAD src0_sel:DWORD src1_sel:WORD_1
	v_add_f16_e32 v122, v124, v17
	v_add_f16_sdwa v123, v125, v17 dst_sel:DWORD dst_unused:UNUSED_PAD src0_sel:DWORD src1_sel:WORD_1
	v_add_f16_e32 v77, v77, v17
	v_add_f16_sdwa v78, v78, v17 dst_sel:DWORD dst_unused:UNUSED_PAD src0_sel:DWORD src1_sel:WORD_1
	v_add_f16_e32 v124, v126, v17
	v_add_f16_sdwa v125, v127, v17 dst_sel:DWORD dst_unused:UNUSED_PAD src0_sel:DWORD src1_sel:WORD_1
	v_add_f16_e32 v50, v50, v17
	v_add_f16_sdwa v17, v47, v17 dst_sel:DWORD dst_unused:UNUSED_PAD src0_sel:DWORD src1_sel:WORD_1
	v_add_f16_e32 v43, v43, v18
	v_add_f16_e32 v41, v41, v15
	v_mul_f16_e32 v99, 0xbb7b, v66
	v_mul_f16_e32 v100, 0xbb7b, v61
	;; [unrolled: 1-line block ×12, first 2 shown]
	v_fmamk_f16 v49, v52, 0x388b, v80
	v_fma_f16 v80, v52, 0x388b, -v80
	v_fmamk_f16 v129, v52, 0xb5ac, v82
	v_fma_f16 v82, v52, 0xb5ac, -v82
	;; [unrolled: 2-line block ×6, first 2 shown]
	v_fmac_f16_e32 v89, 0x2fb7, v55
	v_fma_f16 v138, v55, 0xbbc4, -v91
	v_fmac_f16_e32 v91, 0xbbc4, v55
	v_fma_f16 v140, v55, 0xb5ac, -v93
	v_fmac_f16_e32 v93, 0xb5ac, v55
	v_fma_f16 v142, v55, 0x3b15, -v95
	v_fmac_f16_e32 v95, 0x3b15, v55
	v_fma_f16 v144, v55, 0x388b, -v97
	v_fmac_f16_e32 v97, 0x388b, v55
	v_fma_f16 v146, v55, 0xb9fd, -v58
	v_fmac_f16_e32 v58, 0xb9fd, v55
	v_fma_f16 v55, v56, 0xb9fd, -v57
	v_add_f16_e32 v17, v51, v17
	v_add_f16_e32 v43, v43, v20
	;; [unrolled: 1-line block ×3, first 2 shown]
	v_fmamk_f16 v53, v56, 0x2fb7, v90
	v_fma_f16 v90, v56, 0x2fb7, -v90
	v_fmamk_f16 v139, v56, 0xbbc4, v92
	v_fma_f16 v92, v56, 0xbbc4, -v92
	v_fmamk_f16 v141, v56, 0xb5ac, v94
	v_fma_f16 v94, v56, 0xb5ac, -v94
	v_fmamk_f16 v143, v56, 0x3b15, v96
	v_fma_f16 v96, v56, 0x3b15, -v96
	v_fmamk_f16 v145, v56, 0x388b, v98
	v_fma_f16 v98, v56, 0x388b, -v98
	v_fmamk_f16 v147, v56, 0xb9fd, v57
	v_fma_f16 v56, v59, 0xb5ac, -v99
	v_fmac_f16_e32 v99, 0xb5ac, v59
	v_fma_f16 v148, v59, 0xb9fd, -v101
	v_fmac_f16_e32 v101, 0xb9fd, v59
	v_fma_f16 v150, v59, 0x3b15, -v103
	;; [unrolled: 2-line block ×6, first 2 shown]
	v_add_f16_e32 v17, v55, v17
	v_add_f16_e32 v40, v43, v40
	;; [unrolled: 1-line block ×20, first 2 shown]
	v_mul_f16_e32 v109, 0xb94e, v70
	v_mul_f16_e32 v111, 0x3bf1, v70
	;; [unrolled: 1-line block ×4, first 2 shown]
	v_add_f16_e32 v47, v128, v64
	v_add_f16_e32 v62, v82, v72
	;; [unrolled: 1-line block ×13, first 2 shown]
	v_add_f16_sdwa v21, v21, v24 dst_sel:WORD_1 dst_unused:UNUSED_PAD src0_sel:DWORD src1_sel:DWORD
	v_mul_f16_e32 v110, 0xb94e, v69
	v_mul_f16_e32 v112, 0x3bf1, v69
	v_fmamk_f16 v57, v60, 0xb5ac, v100
	v_fma_f16 v100, v60, 0xb5ac, -v100
	v_fmamk_f16 v149, v60, 0xb9fd, v102
	v_fma_f16 v102, v60, 0xb9fd, -v102
	;; [unrolled: 2-line block ×6, first 2 shown]
	v_fmac_f16_e32 v109, 0xb9fd, v67
	v_fma_f16 v158, v67, 0x2fb7, -v111
	v_fmac_f16_e32 v111, 0x2fb7, v67
	v_fma_f16 v160, v67, 0x388b, -v113
	v_fmac_f16_e32 v113, 0x388b, v67
	v_fma_f16 v162, v67, 0xbbc4, -v115
	v_fmac_f16_e32 v115, 0xbbc4, v67
	v_add_f16_e32 v64, v131, v119
	v_add_f16_e32 v73, v133, v121
	v_add_f16_e32 v76, v134, v122
	v_add_f16_e32 v79, v135, v123
	v_add_f16_e32 v77, v87, v77
	v_add_f16_e32 v81, v137, v125
	v_add_f16_e32 v44, v53, v44
	v_add_f16_e32 v47, v138, v47
	v_add_f16_e32 v51, v92, v62
	v_add_f16_e32 v62, v94, v71
	v_add_f16_e32 v63, v142, v72
	v_add_f16_e32 v71, v96, v75
	v_add_f16_e32 v75, v98, v78
	v_add_f16_e32 v50, v58, v50
	v_add_f16_e32 v45, v99, v45
	v_add_f16_e32 v49, v101, v49
	v_add_f16_e32 v52, v150, v52
	v_add_f16_e32 v54, v103, v54
	v_add_f16_e32 v58, v105, v65
	v_or_b32_sdwa v17, v21, v17 dst_sel:DWORD dst_unused:UNUSED_PAD src0_sel:DWORD src1_sel:WORD_0
	v_mul_f16_e32 v21, 0x3770, v69
	v_mul_f16_e32 v114, 0xba95, v69
	;; [unrolled: 1-line block ×3, first 2 shown]
	v_fmamk_f16 v61, v68, 0xb9fd, v110
	v_fmamk_f16 v159, v68, 0x2fb7, v112
	v_fma_f16 v112, v68, 0x2fb7, -v112
	v_add_f16_e32 v46, v90, v46
	v_add_f16_e32 v53, v141, v64
	;; [unrolled: 1-line block ×20, first 2 shown]
	v_fmamk_f16 v52, v68, 0x3b15, v21
	v_fma_f16 v21, v68, 0x3b15, -v21
	v_mul_f16_e32 v54, 0xbb7b, v69
	v_sub_f16_e32 v58, v15, v19
	v_sub_f16_e32 v59, v18, v20
	v_mul_f16_e32 v116, 0x33a8, v69
	v_fma_f16 v110, v68, 0xb9fd, -v110
	v_fmamk_f16 v161, v68, 0x388b, v114
	v_add_f16_e32 v46, v100, v46
	v_add_f16_e32 v53, v151, v53
	;; [unrolled: 1-line block ×11, first 2 shown]
	v_fma_f16 v44, v67, 0x3b15, -v117
	v_mul_f16_e32 v51, 0xbb7b, v70
	v_add_f16_e32 v56, v21, v71
	v_fmamk_f16 v21, v68, 0xb5ac, v54
	v_add_f16_e32 v60, v18, v20
	v_mul_f16_e32 v20, 0xb3a8, v58
	v_fma_f16 v18, v68, 0xb5ac, -v54
	v_add_f16_e32 v54, v15, v19
	v_mul_f16_e32 v15, 0xb3a8, v59
	v_fmamk_f16 v163, v68, 0xbbc4, v116
	v_fma_f16 v116, v68, 0xbbc4, -v116
	v_add_f16_e32 v80, v136, v124
	v_add_f16_e32 v48, v139, v48
	;; [unrolled: 1-line block ×6, first 2 shown]
	v_fma_f16 v44, v67, 0xb5ac, -v51
	v_fmac_f16_e32 v51, 0xb5ac, v67
	v_add_f16_e32 v61, v21, v73
	v_fma_f16 v19, v60, 0xbbc4, -v20
	v_fmamk_f16 v21, v54, 0xbbc4, v15
	v_add_f16_e32 v76, v146, v80
	v_add_f16_e32 v48, v149, v48
	;; [unrolled: 1-line block ×5, first 2 shown]
	v_mul_f16_e32 v41, 0x3770, v58
	v_add_f16_e32 v18, v19, v42
	v_fmac_f16_e32 v20, 0xbbc4, v60
	v_fma_f16 v19, v54, 0xbbc4, -v15
	v_add_f16_e32 v43, v21, v25
	v_mul_f16_e32 v25, 0x3770, v59
	v_add_f16_e32 v72, v156, v76
	v_add_f16_e32 v28, v159, v48
	v_fma_f16 v21, v60, 0x3b15, -v41
	v_add_f16_e32 v15, v20, v33
	v_add_f16_e32 v40, v19, v40
	v_mul_f16_e32 v19, 0xb94e, v58
	v_fmamk_f16 v20, v54, 0x3b15, v25
	v_fma_f16 v114, v68, 0x388b, -v114
	v_add_f16_e32 v48, v163, v57
	v_add_f16_e32 v57, v44, v72
	;; [unrolled: 1-line block ×3, first 2 shown]
	v_fmac_f16_e32 v41, 0x3b15, v60
	v_fma_f16 v22, v54, 0x3b15, -v25
	v_fma_f16 v25, v60, 0xb9fd, -v19
	v_mul_f16_e32 v33, 0xb94e, v59
	v_add_f16_e32 v44, v20, v28
	v_fmac_f16_e32 v19, 0xb9fd, v60
	v_mul_f16_e32 v28, 0x3a95, v59
	v_add_f16_e32 v26, v114, v55
	v_add_f16_e32 v20, v41, v45
	;; [unrolled: 1-line block ×4, first 2 shown]
	v_fmamk_f16 v23, v54, 0xb9fd, v33
	v_mul_f16_e32 v25, 0x3a95, v58
	v_fma_f16 v27, v54, 0xb9fd, -v33
	v_add_f16_e32 v19, v19, v24
	v_fmamk_f16 v24, v54, 0x388b, v28
	v_fma_f16 v28, v54, 0x388b, -v28
	v_add_f16_e32 v65, v107, v74
	v_fmac_f16_e32 v117, 0x3b15, v67
	v_add_f16_e32 v46, v23, v46
	v_fma_f16 v23, v60, 0x388b, -v25
	v_add_f16_e32 v42, v27, v26
	v_mul_f16_e32 v27, 0xbb7b, v58
	v_fmac_f16_e32 v25, 0x388b, v60
	v_mul_f16_e32 v33, 0xbb7b, v59
	v_add_f16_e32 v45, v28, v50
	v_mul_f16_e32 v28, 0x3bf1, v58
	v_add_f16_e32 v52, v52, v64
	v_add_f16_e32 v55, v117, v65
	;; [unrolled: 1-line block ×4, first 2 shown]
	v_fma_f16 v24, v60, 0xb5ac, -v27
	v_add_f16_e32 v26, v25, v49
	v_fmamk_f16 v25, v54, 0xb5ac, v33
	v_fmac_f16_e32 v27, 0xb5ac, v60
	v_fma_f16 v50, v60, 0x2fb7, -v28
	v_mul_f16_e32 v51, 0x3bf1, v59
	v_fma_f16 v33, v54, 0xb5ac, -v33
	v_add_f16_e32 v49, v25, v52
	v_add_f16_e32 v25, v27, v55
	;; [unrolled: 1-line block ×3, first 2 shown]
	v_fmamk_f16 v50, v54, 0x2fb7, v51
	v_fmac_f16_e32 v28, 0x2fb7, v60
	v_fma_f16 v52, v54, 0x2fb7, -v51
	v_add_f16_e32 v24, v24, v53
	v_add_f16_e32 v48, v33, v56
	v_lshl_add_u32 v33, v31, 2, v32
	v_pack_b32_f16 v53, v18, v43
	v_pack_b32_f16 v54, v21, v44
	;; [unrolled: 1-line block ×3, first 2 shown]
	v_add_f16_e32 v51, v50, v61
	v_add_f16_e32 v28, v28, v62
	;; [unrolled: 1-line block ×3, first 2 shown]
	ds_write2_b32 v33, v17, v53 offset1:17
	ds_write2_b32 v33, v54, v55 offset0:34 offset1:51
	v_pack_b32_f16 v52, v23, v47
	v_pack_b32_f16 v53, v24, v49
	;; [unrolled: 1-line block ×9, first 2 shown]
	ds_write2_b32 v33, v52, v53 offset0:68 offset1:85
	ds_write2_b32 v33, v54, v55 offset0:102 offset1:119
	;; [unrolled: 1-line block ×4, first 2 shown]
	ds_write_b32 v33, v60 offset:816
	s_waitcnt lgkmcnt(0)
	s_barrier
	buffer_gl0_inv
	s_and_saveexec_b32 s2, vcc_lo
	s_cbranch_execz .LBB0_9
; %bb.8:
	s_add_u32 s0, s12, 0x374
	s_addc_u32 s1, s13, 0
	s_clause 0x10
	global_load_dword v68, v30, s[12:13] offset:884
	global_load_dword v69, v30, s[0:1] offset:52
	;; [unrolled: 1-line block ×17, first 2 shown]
	ds_read2_b32 v[52:53], v33 offset1:13
	ds_read2_b32 v[54:55], v33 offset0:26 offset1:39
	ds_read2_b32 v[56:57], v33 offset0:52 offset1:65
	;; [unrolled: 1-line block ×7, first 2 shown]
	ds_read_b32 v85, v33 offset:832
	s_waitcnt lgkmcnt(8)
	v_lshrrev_b32_e32 v86, 16, v52
	v_lshrrev_b32_e32 v87, 16, v53
	s_waitcnt lgkmcnt(7)
	v_lshrrev_b32_e32 v88, 16, v54
	v_lshrrev_b32_e32 v89, 16, v55
	;; [unrolled: 3-line block ×8, first 2 shown]
	s_waitcnt lgkmcnt(0)
	v_lshrrev_b32_e32 v102, 16, v85
	s_waitcnt vmcnt(16)
	v_mul_f16_sdwa v103, v86, v68 dst_sel:DWORD dst_unused:UNUSED_PAD src0_sel:DWORD src1_sel:WORD_1
	v_mul_f16_sdwa v104, v52, v68 dst_sel:DWORD dst_unused:UNUSED_PAD src0_sel:DWORD src1_sel:WORD_1
	s_waitcnt vmcnt(15)
	v_mul_f16_sdwa v105, v87, v69 dst_sel:DWORD dst_unused:UNUSED_PAD src0_sel:DWORD src1_sel:WORD_1
	v_mul_f16_sdwa v106, v53, v69 dst_sel:DWORD dst_unused:UNUSED_PAD src0_sel:DWORD src1_sel:WORD_1
	;; [unrolled: 3-line block ×17, first 2 shown]
	v_fma_f16 v52, v52, v68, -v103
	v_fmac_f16_e32 v104, v86, v68
	v_fma_f16 v53, v53, v69, -v105
	v_fmac_f16_e32 v106, v87, v69
	;; [unrolled: 2-line block ×17, first 2 shown]
	v_pack_b32_f16 v52, v52, v104
	v_pack_b32_f16 v53, v53, v106
	;; [unrolled: 1-line block ×17, first 2 shown]
	ds_write2_b32 v33, v52, v53 offset1:13
	ds_write2_b32 v33, v54, v55 offset0:26 offset1:39
	ds_write2_b32 v33, v56, v57 offset0:52 offset1:65
	;; [unrolled: 1-line block ×7, first 2 shown]
	ds_write_b32 v33, v68 offset:832
.LBB0_9:
	s_or_b32 exec_lo, exec_lo, s2
	s_waitcnt lgkmcnt(0)
	s_barrier
	buffer_gl0_inv
	s_and_saveexec_b32 s0, vcc_lo
	s_cbranch_execz .LBB0_11
; %bb.10:
	ds_read2_b32 v[17:18], v33 offset1:13
	ds_read2_b32 v[21:22], v33 offset0:26 offset1:39
	ds_read2_b32 v[23:24], v33 offset0:52 offset1:65
	;; [unrolled: 1-line block ×7, first 2 shown]
	ds_read_b32 v34, v33 offset:832
	s_waitcnt lgkmcnt(8)
	v_lshrrev_b32_e32 v43, 16, v18
	s_waitcnt lgkmcnt(7)
	v_lshrrev_b32_e32 v44, 16, v21
	v_lshrrev_b32_e32 v46, 16, v22
	s_waitcnt lgkmcnt(6)
	v_lshrrev_b32_e32 v47, 16, v23
	;; [unrolled: 3-line block ×8, first 2 shown]
.LBB0_11:
	s_or_b32 exec_lo, exec_lo, s0
	s_barrier
	buffer_gl0_inv
	s_and_saveexec_b32 s0, vcc_lo
	s_cbranch_execz .LBB0_13
; %bb.12:
	v_add_f16_e32 v131, v35, v43
	v_sub_f16_e32 v57, v18, v34
	v_add_f16_e32 v127, v36, v44
	v_sub_f16_e32 v56, v21, v14
	v_add_f16_e32 v124, v37, v46
	v_mul_f16_e32 v83, 0xbbdd, v131
	v_sub_f16_e32 v53, v22, v13
	v_mul_f16_e32 v84, 0x3b76, v127
	v_add_f16_e32 v105, v38, v47
	v_mul_f16_e32 v79, 0xbacd, v124
	v_fmamk_f16 v55, v57, 0x31e1, v83
	v_sub_f16_e32 v52, v23, v16
	v_fmamk_f16 v58, v56, 0xb5c8, v84
	v_add_f16_e32 v107, v40, v49
	v_mul_f16_e32 v80, 0x39e9, v105
	v_add_f16_sdwa v59, v55, v17 dst_sel:DWORD dst_unused:UNUSED_PAD src0_sel:DWORD src1_sel:WORD_1
	v_fmamk_f16 v60, v53, 0x3836, v79
	v_sub_f16_e32 v142, v43, v35
	v_sub_f16_e32 v54, v24, v15
	v_add_f16_e32 v110, v41, v51
	v_add_f16_e32 v59, v58, v59
	;; [unrolled: 1-line block ×3, first 2 shown]
	v_mul_f16_e32 v82, 0xb8d2, v107
	v_fmamk_f16 v61, v52, 0xb964, v80
	v_sub_f16_e32 v145, v44, v36
	v_add_f16_e32 v59, v60, v59
	v_mul_f16_e32 v89, 0xb1e1, v142
	v_sub_f16_e32 v55, v27, v20
	v_mul_f16_e32 v81, 0x3722, v110
	v_fmamk_f16 v60, v54, 0x3a62, v82
	v_add_f16_e32 v61, v61, v59
	v_add_f16_e32 v59, v14, v21
	v_mul_f16_e32 v87, 0x35c8, v145
	v_fmamk_f16 v63, v58, 0xbbdd, v89
	v_sub_f16_e32 v160, v46, v37
	v_fmamk_f16 v62, v55, 0xbb29, v81
	v_add_f16_e32 v60, v60, v61
	v_add_f16_e32 v139, v42, v50
	v_fmamk_f16 v64, v59, 0x3b76, v87
	v_add_f16_e32 v63, v63, v17
	v_add_f16_e32 v61, v13, v22
	v_mul_f16_e32 v92, 0xb836, v160
	v_sub_f16_e32 v161, v47, v38
	v_add_f16_e32 v65, v62, v60
	v_mul_f16_e32 v85, 0xb461, v139
	v_sub_f16_e32 v60, v28, v19
	v_add_f16_e32 v63, v64, v63
	v_fmamk_f16 v64, v61, 0xbacd, v92
	v_add_f16_e32 v62, v16, v23
	v_mul_f16_e32 v94, 0x3964, v161
	v_sub_f16_e32 v166, v49, v40
	v_fmamk_f16 v66, v60, 0x3bb2, v85
	v_add_f16_e32 v141, v45, v48
	v_add_f16_e32 v64, v64, v63
	v_fmamk_f16 v67, v62, 0x39e9, v94
	v_add_f16_e32 v63, v15, v24
	v_mul_f16_e32 v91, 0xba62, v166
	v_sub_f16_e32 v151, v51, v41
	v_mul_f16_e32 v101, 0xbacd, v131
	v_add_f16_e32 v68, v66, v65
	v_mul_f16_e32 v88, 0x2de8, v141
	v_add_f16_e32 v64, v67, v64
	v_fmamk_f16 v67, v63, 0xb8d2, v91
	v_add_f16_e32 v65, v20, v27
	v_mul_f16_e32 v93, 0x3b29, v151
	v_sub_f16_e32 v66, v25, v26
	v_sub_f16_e32 v128, v50, v42
	v_fmamk_f16 v70, v57, 0x3836, v101
	v_mul_f16_e32 v102, 0x3722, v127
	v_add_f16_e32 v64, v67, v64
	v_fmamk_f16 v69, v65, 0x3722, v93
	v_add_f16_e32 v67, v19, v28
	v_mul_f16_e32 v90, 0xbbb2, v128
	v_fmamk_f16 v71, v66, 0xbbf7, v88
	v_add_f16_sdwa v70, v70, v17 dst_sel:DWORD dst_unused:UNUSED_PAD src0_sel:DWORD src1_sel:WORD_1
	v_fmamk_f16 v73, v56, 0xbb29, v102
	v_mul_f16_e32 v95, 0x2de8, v124
	v_add_f16_e32 v69, v69, v64
	v_fmamk_f16 v72, v67, 0xb461, v90
	v_add_f16_e32 v64, v71, v68
	v_add_f16_e32 v70, v73, v70
	v_fmamk_f16 v71, v53, 0x3bf7, v95
	v_mul_f16_e32 v96, 0xb8d2, v105
	v_mul_f16_e32 v111, 0xb836, v142
	v_add_f16_e32 v69, v72, v69
	v_mul_f16_e32 v97, 0x3b76, v107
	v_add_f16_e32 v70, v71, v70
	v_fmamk_f16 v71, v52, 0xba62, v96
	v_fmamk_f16 v72, v58, 0xbacd, v111
	v_mul_f16_e32 v112, 0x3b29, v145
	v_mul_f16_e32 v98, 0xbbdd, v110
	;; [unrolled: 1-line block ×3, first 2 shown]
	v_add_f16_e32 v70, v71, v70
	v_fmamk_f16 v71, v54, 0x35c8, v97
	v_add_f16_e32 v72, v72, v17
	v_fmamk_f16 v73, v59, 0x3722, v112
	v_sub_f16_e32 v162, v48, v45
	v_mul_f16_e32 v99, 0x39e9, v139
	v_add_f16_e32 v70, v71, v70
	v_fmamk_f16 v71, v55, 0x31e1, v98
	v_add_f16_e32 v72, v73, v72
	v_fmamk_f16 v73, v61, 0x2de8, v116
	v_mul_f16_e32 v103, 0x3a62, v161
	v_add_f16_e32 v68, v26, v25
	v_mul_f16_e32 v106, 0x3bf7, v162
	v_add_f16_e32 v70, v71, v70
	v_fmamk_f16 v71, v60, 0xb964, v99
	v_add_f16_e32 v72, v73, v72
	v_fmamk_f16 v73, v62, 0xb8d2, v103
	v_mul_f16_e32 v104, 0xb5c8, v166
	v_mul_f16_e32 v121, 0xb8d2, v131
	v_fmamk_f16 v74, v68, 0x2de8, v106
	v_add_f16_e32 v70, v71, v70
	v_add_f16_e32 v71, v73, v72
	v_fmamk_f16 v72, v63, 0x3b76, v104
	v_mul_f16_e32 v113, 0xb1e1, v151
	v_fmamk_f16 v73, v57, 0x3a62, v121
	v_mul_f16_e32 v122, 0xb461, v127
	v_add_f16_e32 v69, v74, v69
	v_add_f16_e32 v71, v72, v71
	v_fmamk_f16 v72, v65, 0xbbdd, v113
	v_mul_f16_e32 v100, 0x3964, v128
	v_add_f16_sdwa v73, v73, v17 dst_sel:DWORD dst_unused:UNUSED_PAD src0_sel:DWORD src1_sel:WORD_1
	v_fmamk_f16 v74, v56, 0xbbb2, v122
	v_mul_f16_e32 v123, 0x3b76, v124
	v_mul_f16_e32 v108, 0xb461, v141
	v_add_f16_e32 v71, v72, v71
	v_fmamk_f16 v72, v67, 0x39e9, v100
	v_add_f16_e32 v73, v74, v73
	v_fmamk_f16 v74, v53, 0x35c8, v123
	v_mul_f16_e32 v109, 0xbacd, v105
	v_mul_f16_e32 v132, 0xba62, v142
	v_fmamk_f16 v75, v66, 0x3bb2, v108
	v_add_f16_e32 v71, v72, v71
	v_add_f16_e32 v72, v74, v73
	v_fmamk_f16 v73, v52, 0x3836, v109
	v_mul_f16_e32 v125, 0x2de8, v107
	v_fmamk_f16 v74, v58, 0xb8d2, v132
	v_mul_f16_e32 v133, 0x3bb2, v145
	v_add_f16_e32 v70, v75, v70
	v_add_f16_e32 v72, v73, v72
	v_fmamk_f16 v73, v54, 0xbbf7, v125
	v_mul_f16_e32 v114, 0x39e9, v110
	v_add_f16_e32 v74, v74, v17
	v_fmamk_f16 v75, v59, 0xb461, v133
	v_mul_f16_e32 v136, 0xb5c8, v160
	v_add_f16_e32 v72, v73, v72
	v_fmamk_f16 v73, v55, 0x3964, v114
	v_mul_f16_e32 v115, 0xbbdd, v139
	v_add_f16_e32 v74, v75, v74
	v_fmamk_f16 v75, v61, 0x3b76, v136
	v_mul_f16_e32 v119, 0xb836, v161
	v_mul_f16_e32 v129, 0xbbb2, v162
	v_add_f16_e32 v72, v73, v72
	v_fmamk_f16 v73, v60, 0x31e1, v115
	v_add_f16_e32 v74, v75, v74
	v_fmamk_f16 v75, v62, 0xbacd, v119
	v_mul_f16_e32 v120, 0x3bf7, v166
	v_mul_f16_e32 v146, 0xb461, v131
	v_fmamk_f16 v76, v68, 0xb461, v129
	v_add_f16_e32 v72, v73, v72
	v_add_f16_e32 v73, v75, v74
	v_fmamk_f16 v74, v63, 0x2de8, v120
	v_mul_f16_e32 v117, 0xb964, v151
	v_fmamk_f16 v75, v57, 0x3bb2, v146
	v_mul_f16_e32 v147, 0xbacd, v127
	v_add_f16_e32 v71, v76, v71
	v_add_f16_e32 v73, v74, v73
	v_fmamk_f16 v74, v65, 0x39e9, v117
	v_mul_f16_e32 v118, 0xb1e1, v128
	v_add_f16_sdwa v75, v75, v17 dst_sel:DWORD dst_unused:UNUSED_PAD src0_sel:DWORD src1_sel:WORD_1
	v_fmamk_f16 v76, v56, 0xb836, v147
	v_mul_f16_e32 v126, 0x39e9, v124
	v_mul_f16_e32 v140, 0x3722, v141
	v_add_f16_e32 v73, v74, v73
	v_fmamk_f16 v74, v67, 0xbbdd, v118
	v_add_f16_e32 v75, v76, v75
	v_fmamk_f16 v76, v53, 0xb964, v126
	v_mul_f16_e32 v130, 0x3722, v105
	v_mul_f16_e32 v163, 0xbbb2, v142
	v_fmamk_f16 v77, v66, 0xbb29, v140
	v_add_f16_e32 v73, v74, v73
	v_add_f16_e32 v74, v76, v75
	v_fmamk_f16 v75, v52, 0x3b29, v130
	v_mul_f16_e32 v144, 0xbbdd, v107
	v_fmamk_f16 v76, v58, 0xb461, v163
	v_mul_f16_e32 v164, 0x3836, v145
	v_add_f16_e32 v72, v77, v72
	v_add_f16_e32 v74, v75, v74
	v_fmamk_f16 v75, v54, 0x31e1, v144
	v_mul_f16_e32 v134, 0x2de8, v110
	v_add_f16_e32 v76, v76, v17
	v_fmamk_f16 v77, v59, 0xbacd, v164
	v_mul_f16_e32 v167, 0x3964, v160
	v_add_f16_e32 v74, v75, v74
	v_fmamk_f16 v75, v55, 0xbbf7, v134
	v_mul_f16_e32 v135, 0x3b76, v139
	v_add_f16_e32 v76, v77, v76
	v_fmamk_f16 v77, v61, 0x39e9, v167
	v_mul_f16_e32 v168, 0xbb29, v161
	;; [unrolled: 48-line block ×4, first 2 shown]
	v_mul_f16_e32 v198, 0x3964, v162
	v_add_f16_e32 v78, v86, v78
	v_fmamk_f16 v86, v60, 0x3bf7, v184
	v_add_f16_e32 v137, v138, v137
	v_fmamk_f16 v138, v62, 0xb461, v191
	v_mul_f16_e32 v192, 0x3964, v166
	v_mul_f16_e32 v205, 0x39e9, v131
	v_fmamk_f16 v153, v68, 0x39e9, v198
	v_add_f16_e32 v78, v86, v78
	v_add_f16_e32 v86, v138, v137
	v_fmamk_f16 v137, v63, 0x39e9, v192
	v_mul_f16_e32 v186, 0xb5c8, v151
	v_fmamk_f16 v138, v57, 0x3964, v205
	v_mul_f16_e32 v206, 0x2de8, v127
	v_add_f16_e32 v77, v153, v77
	v_add_f16_e32 v86, v137, v86
	v_fmamk_f16 v137, v65, 0x3b76, v186
	v_mul_f16_e32 v188, 0xbbf7, v128
	v_add_f16_sdwa v138, v138, v17 dst_sel:DWORD dst_unused:UNUSED_PAD src0_sel:DWORD src1_sel:WORD_1
	v_fmamk_f16 v153, v56, 0x3bf7, v206
	v_mul_f16_e32 v197, 0xb8d2, v124
	v_mul_f16_e32 v203, 0xbacd, v141
	v_add_f16_e32 v86, v137, v86
	v_fmamk_f16 v137, v67, 0x2de8, v188
	v_add_f16_e32 v138, v153, v138
	v_fmamk_f16 v153, v53, 0x3a62, v197
	v_mul_f16_e32 v199, 0xbbdd, v105
	v_fmamk_f16 v157, v66, 0x3836, v203
	v_add_f16_e32 v86, v137, v86
	v_mul_f16_e32 v208, 0xb964, v142
	v_add_f16_e32 v137, v153, v138
	v_fmamk_f16 v138, v52, 0x31e1, v199
	v_mul_f16_e32 v204, 0xbacd, v107
	v_add_f16_e32 v78, v157, v78
	v_fmamk_f16 v153, v58, 0x39e9, v208
	;; [unrolled: 3-line block ×5, first 2 shown]
	v_mul_f16_e32 v137, 0x3722, v139
	v_mul_f16_e32 v207, 0xb836, v162
	v_add_f16_e32 v158, v158, v153
	v_fmamk_f16 v170, v61, 0xb8d2, v210
	v_mul_f16_e32 v153, 0xb1e1, v161
	v_add_f16_e32 v157, v159, v157
	v_fmamk_f16 v159, v60, 0xbb29, v137
	v_fmamk_f16 v172, v68, 0xbacd, v207
	v_add_f16_e32 v170, v170, v158
	v_fmamk_f16 v187, v62, 0xbbdd, v153
	v_mul_f16_e32 v158, 0x3836, v166
	v_add_f16_e32 v189, v159, v157
	v_mul_f16_e32 v157, 0x3b76, v131
	v_add_f16_e32 v86, v172, v86
	v_add_f16_e32 v159, v187, v170
	v_fmamk_f16 v170, v63, 0xbacd, v158
	v_mul_f16_e32 v172, 0x3bb2, v151
	v_fmamk_f16 v187, v57, 0x35c8, v157
	v_mul_f16_e32 v127, 0x39e9, v127
	v_mul_f16_e32 v131, 0x3b76, v141
	v_add_f16_e32 v159, v170, v159
	v_fmamk_f16 v190, v65, 0xb461, v172
	v_mul_f16_e32 v170, 0x3b29, v128
	v_add_f16_sdwa v187, v187, v17 dst_sel:DWORD dst_unused:UNUSED_PAD src0_sel:DWORD src1_sel:WORD_1
	v_fmamk_f16 v211, v56, 0x3964, v127
	v_mul_f16_e32 v124, 0x3722, v124
	v_fmamk_f16 v212, v66, 0xb5c8, v131
	v_add_f16_e32 v190, v190, v159
	v_fmamk_f16 v213, v67, 0x3722, v170
	v_add_f16_e32 v211, v211, v187
	v_mul_f16_e32 v187, 0xb5c8, v142
	v_fmamk_f16 v214, v53, 0x3b29, v124
	v_mul_f16_e32 v159, 0x2de8, v105
	v_add_f16_e32 v105, v212, v189
	v_add_f16_e32 v212, v213, v190
	v_mul_f16_e32 v142, 0xb461, v107
	v_mul_f16_e32 v190, 0x35c8, v162
	v_fmamk_f16 v107, v58, 0x3b76, v187
	v_mul_f16_e32 v145, 0xb964, v145
	v_fmac_f16_e32 v83, 0xb1e1, v57
	v_add_f16_e32 v189, v214, v211
	v_fmamk_f16 v214, v68, 0x3b76, v190
	v_add_f16_e32 v107, v107, v17
	v_fmamk_f16 v213, v59, 0x39e9, v145
	v_add_f16_sdwa v83, v83, v17 dst_sel:DWORD dst_unused:UNUSED_PAD src0_sel:DWORD src1_sel:WORD_1
	v_fmac_f16_e32 v84, 0x35c8, v56
	v_fmac_f16_e32 v79, 0xb836, v53
	v_fma_f16 v89, v58, 0xbbdd, -v89
	v_add_f16_e32 v213, v213, v107
	v_add_f16_e32 v107, v214, v212
	;; [unrolled: 1-line block ×3, first 2 shown]
	v_mul_f16_e32 v84, 0xb836, v128
	v_fmac_f16_e32 v80, 0x3964, v52
	v_add_f16_e32 v89, v89, v17
	v_fma_f16 v87, v59, 0x3b76, -v87
	v_add_f16_e32 v128, v79, v214
	v_fmac_f16_e32 v82, 0xba62, v54
	v_fmac_f16_e32 v81, 0x3b29, v55
	;; [unrolled: 1-line block ×3, first 2 shown]
	v_add_f16_e32 v87, v87, v89
	v_add_f16_e32 v80, v80, v128
	v_fma_f16 v89, v61, 0xbacd, -v92
	v_fmac_f16_e32 v85, 0xbbb2, v60
	v_fmac_f16_e32 v102, 0x3b29, v56
	;; [unrolled: 1-line block ×3, first 2 shown]
	v_add_f16_e32 v82, v82, v80
	v_add_f16_e32 v87, v89, v87
	v_fma_f16 v89, v62, 0x39e9, -v94
	v_fmac_f16_e32 v95, 0xbbf7, v53
	v_fmamk_f16 v211, v52, 0x3bf7, v159
	v_add_f16_e32 v81, v81, v82
	v_fmac_f16_e32 v96, 0x3a62, v52
	v_add_f16_e32 v82, v89, v87
	v_fma_f16 v87, v63, 0xb8d2, -v91
	v_add_f16_sdwa v89, v101, v17 dst_sel:DWORD dst_unused:UNUSED_PAD src0_sel:DWORD src1_sel:WORD_1
	v_add_f16_e32 v81, v85, v81
	v_fma_f16 v85, v65, 0x3722, -v93
	v_add_f16_e32 v189, v211, v189
	v_add_f16_e32 v82, v87, v82
	;; [unrolled: 1-line block ×4, first 2 shown]
	v_fma_f16 v88, v58, 0xbacd, -v111
	v_fma_f16 v89, v59, 0x3722, -v112
	v_add_f16_e32 v82, v85, v82
	v_fma_f16 v85, v67, 0xb461, -v90
	v_add_f16_e32 v87, v95, v87
	v_add_f16_e32 v88, v88, v17
	v_fmamk_f16 v211, v54, 0x3bb2, v142
	v_mul_f16_e32 v160, 0xbb29, v160
	v_add_f16_e32 v82, v85, v82
	v_fma_f16 v85, v68, 0x2de8, -v106
	v_add_f16_e32 v87, v96, v87
	v_fmac_f16_e32 v97, 0xb5c8, v54
	v_add_f16_e32 v88, v89, v88
	v_fma_f16 v89, v61, 0x2de8, -v116
	v_fmac_f16_e32 v121, 0xba62, v57
	v_mul_f16_e32 v110, 0xb8d2, v110
	v_add_f16_e32 v211, v211, v189
	v_fmamk_f16 v216, v61, 0x3722, v160
	v_mul_f16_e32 v189, 0xbbf7, v161
	v_add_f16_e32 v82, v85, v82
	v_add_f16_e32 v85, v97, v87
	;; [unrolled: 1-line block ×3, first 2 shown]
	v_fma_f16 v88, v62, 0xb8d2, -v103
	v_add_f16_sdwa v89, v121, v17 dst_sel:DWORD dst_unused:UNUSED_PAD src0_sel:DWORD src1_sel:WORD_1
	v_fmac_f16_e32 v122, 0x3bb2, v56
	v_fmamk_f16 v215, v55, 0x3a62, v110
	v_mul_f16_e32 v139, 0xbacd, v139
	v_add_f16_e32 v212, v216, v213
	v_fmamk_f16 v213, v62, 0x2de8, v189
	v_mul_f16_e32 v161, 0xbbb2, v166
	v_add_f16_e32 v87, v88, v87
	v_fma_f16 v88, v63, 0x3b76, -v104
	v_add_f16_e32 v89, v122, v89
	v_fmac_f16_e32 v123, 0xb5c8, v53
	v_add_f16_e32 v211, v215, v211
	v_fmamk_f16 v166, v60, 0x3836, v139
	v_mul_f16_e32 v141, 0xbbdd, v141
	v_add_f16_e32 v212, v213, v212
	v_fmamk_f16 v213, v63, 0xb461, v161
	v_mul_f16_e32 v151, 0xba62, v151
	v_add_f16_e32 v87, v88, v87
	v_fma_f16 v88, v65, 0xbbdd, -v113
	v_add_f16_e32 v89, v123, v89
	v_fmac_f16_e32 v109, 0xb836, v52
	v_fma_f16 v90, v58, 0xb8d2, -v132
	v_add_f16_e32 v166, v166, v211
	v_fmamk_f16 v211, v66, 0x31e1, v141
	v_add_f16_e32 v212, v213, v212
	v_fmamk_f16 v213, v65, 0xb8d2, v151
	v_add_f16_e32 v87, v88, v87
	v_fma_f16 v88, v67, 0x39e9, -v100
	v_add_f16_e32 v89, v109, v89
	v_fmac_f16_e32 v125, 0x3bf7, v54
	v_add_f16_e32 v90, v90, v17
	v_fma_f16 v91, v59, 0xb461, -v133
	v_add_f16_e32 v83, v211, v166
	v_add_f16_e32 v166, v213, v212
	v_fmamk_f16 v211, v67, 0xbacd, v84
	v_mul_f16_e32 v79, 0xb1e1, v162
	v_add_f16_e32 v87, v88, v87
	v_fma_f16 v88, v68, 0xb461, -v129
	v_add_f16_e32 v89, v125, v89
	v_fmac_f16_e32 v114, 0xb964, v55
	v_add_f16_e32 v90, v91, v90
	v_fma_f16 v91, v61, 0x3b76, -v136
	v_fmac_f16_e32 v146, 0xbbb2, v57
	v_add_f16_e32 v92, v211, v166
	v_fmamk_f16 v128, v68, 0xbbdd, v79
	v_add_f16_e32 v87, v88, v87
	v_add_f16_e32 v88, v114, v89
	;; [unrolled: 1-line block ×3, first 2 shown]
	v_fma_f16 v90, v62, 0xbacd, -v119
	v_add_f16_sdwa v91, v146, v17 dst_sel:DWORD dst_unused:UNUSED_PAD src0_sel:DWORD src1_sel:WORD_1
	v_fmac_f16_e32 v147, 0x3836, v56
	v_add_f16_e32 v80, v128, v92
	v_fmac_f16_e32 v126, 0x3964, v53
	v_add_f16_e32 v89, v90, v89
	v_fma_f16 v90, v63, 0x2de8, -v120
	v_add_f16_e32 v91, v147, v91
	v_fma_f16 v92, v58, 0xb461, -v163
	v_fmac_f16_e32 v130, 0xbb29, v52
	v_fma_f16 v93, v59, 0xbacd, -v164
	v_add_f16_e32 v89, v90, v89
	v_fma_f16 v90, v65, 0x39e9, -v117
	v_add_f16_e32 v91, v126, v91
	v_add_f16_e32 v92, v92, v17
	v_fmac_f16_e32 v144, 0xb1e1, v54
	v_fmac_f16_e32 v134, 0x3bf7, v55
	v_add_f16_e32 v89, v90, v89
	v_fma_f16 v90, v67, 0xbbdd, -v118
	v_add_f16_e32 v91, v130, v91
	v_add_f16_e32 v92, v93, v92
	v_fma_f16 v93, v61, 0x39e9, -v167
	v_fmac_f16_e32 v173, 0xbbf7, v57
	v_add_f16_e32 v89, v90, v89
	v_fma_f16 v90, v68, 0x3722, -v148
	v_add_f16_e32 v91, v144, v91
	v_add_f16_e32 v92, v93, v92
	v_fma_f16 v93, v62, 0x3722, -v168
	v_fmac_f16_e32 v174, 0xb1e1, v56
	v_add_f16_e32 v89, v90, v89
	v_add_f16_e32 v90, v134, v91
	v_add_f16_sdwa v43, v43, v17 dst_sel:DWORD dst_unused:UNUSED_PAD src0_sel:DWORD src1_sel:WORD_1
	v_add_f16_e32 v91, v93, v92
	v_fma_f16 v92, v63, 0xbbdd, -v152
	v_add_f16_sdwa v93, v173, v17 dst_sel:DWORD dst_unused:UNUSED_PAD src0_sel:DWORD src1_sel:WORD_1
	v_add_f16_e32 v18, v18, v17
	v_fmac_f16_e32 v149, 0x3bb2, v53
	v_fma_f16 v94, v58, 0x2de8, -v180
	v_add_f16_e32 v91, v92, v91
	v_fma_f16 v92, v65, 0x2de8, -v169
	v_add_f16_e32 v93, v174, v93
	v_add_f16_e32 v43, v44, v43
	;; [unrolled: 1-line block ×3, first 2 shown]
	v_fmac_f16_e32 v150, 0x35c8, v52
	v_add_f16_e32 v91, v92, v91
	v_fma_f16 v92, v67, 0x3b76, -v143
	v_add_f16_e32 v93, v149, v93
	v_add_f16_e32 v94, v94, v17
	v_fma_f16 v95, v59, 0xbbdd, -v181
	v_add_f16_e32 v43, v46, v43
	v_add_f16_e32 v18, v22, v18
	v_fmac_f16_e32 v98, 0xb1e1, v55
	v_add_f16_e32 v91, v92, v91
	v_fma_f16 v92, v68, 0xb8d2, -v177
	v_add_f16_e32 v93, v150, v93
	v_fmac_f16_e32 v154, 0xbb29, v54
	v_add_f16_e32 v94, v95, v94
	v_fma_f16 v95, v61, 0xb461, -v185
	v_fmac_f16_e32 v193, 0xbb29, v57
	v_add_f16_e32 v43, v47, v43
	v_add_f16_e32 v18, v23, v18
	v_add_f16_e32 v85, v98, v85
	v_fmac_f16_e32 v99, 0x3964, v60
	v_fma_f16 v98, v58, 0x39e9, -v208
	v_add_f16_e32 v91, v92, v91
	v_add_f16_e32 v92, v154, v93
	;; [unrolled: 1-line block ×3, first 2 shown]
	v_fma_f16 v94, v62, 0x3b76, -v175
	v_add_f16_sdwa v95, v193, v17 dst_sel:DWORD dst_unused:UNUSED_PAD src0_sel:DWORD src1_sel:WORD_1
	v_fmac_f16_e32 v194, 0xba62, v56
	v_add_f16_e32 v23, v49, v43
	v_add_f16_e32 v18, v24, v18
	;; [unrolled: 1-line block ×4, first 2 shown]
	v_fma_f16 v99, v59, 0x2de8, -v209
	v_add_f16_e32 v93, v94, v93
	v_fma_f16 v94, v63, 0x3722, -v176
	v_add_f16_e32 v95, v194, v95
	v_fmac_f16_e32 v195, 0x31e1, v53
	v_add_f16_e32 v23, v51, v23
	v_add_f16_e32 v18, v27, v18
	v_add_f16_e32 v98, v99, v98
	v_fma_f16 v99, v61, 0xb8d2, -v210
	v_add_f16_e32 v93, v94, v93
	v_fma_f16 v94, v65, 0xbacd, -v182
	v_add_f16_e32 v95, v195, v95
	v_fmac_f16_e32 v179, 0x3bb2, v52
	v_fma_f16 v96, v58, 0x3722, -v200
	v_add_f16_e32 v23, v50, v23
	v_add_f16_e32 v18, v28, v18
	;; [unrolled: 1-line block ×3, first 2 shown]
	v_fma_f16 v99, v62, 0xbbdd, -v153
	v_add_f16_e32 v93, v94, v93
	v_fma_f16 v94, v67, 0xb8d2, -v171
	v_add_f16_e32 v95, v179, v95
	v_fmac_f16_e32 v196, 0x3964, v54
	v_add_f16_e32 v96, v96, v17
	v_fma_f16 v97, v59, 0xb8d2, -v201
	v_add_f16_e32 v23, v48, v23
	v_add_f16_e32 v18, v25, v18
	v_add_f16_e32 v21, v99, v98
	v_fma_f16 v44, v63, 0xbacd, -v158
	v_add_f16_e32 v93, v94, v93
	v_fma_f16 v94, v68, 0x39e9, -v198
	v_add_f16_e32 v95, v196, v95
	v_fmac_f16_e32 v183, 0xb5c8, v55
	v_add_f16_e32 v96, v97, v96
	v_fma_f16 v97, v61, 0xbbdd, -v202
	v_fmac_f16_e32 v205, 0xb964, v57
	v_fmac_f16_e32 v157, 0xb5c8, v57
	v_fma_f16 v28, v58, 0x3b76, -v187
	v_add_f16_e32 v23, v45, v23
	v_add_f16_e32 v18, v26, v18
	;; [unrolled: 1-line block ×3, first 2 shown]
	v_fma_f16 v44, v65, 0xb461, -v172
	v_add_f16_e32 v93, v94, v93
	v_add_f16_e32 v94, v183, v95
	;; [unrolled: 1-line block ×3, first 2 shown]
	v_add_f16_sdwa v97, v205, v17 dst_sel:DWORD dst_unused:UNUSED_PAD src0_sel:DWORD src1_sel:WORD_1
	v_add_f16_sdwa v43, v157, v17 dst_sel:DWORD dst_unused:UNUSED_PAD src0_sel:DWORD src1_sel:WORD_1
	v_add_f16_e32 v17, v28, v17
	v_fma_f16 v25, v59, 0x39e9, -v145
	v_add_f16_e32 v23, v42, v23
	v_add_f16_e32 v18, v19, v18
	v_fmac_f16_e32 v206, 0xbbf7, v56
	v_add_f16_e32 v21, v44, v21
	v_fma_f16 v24, v67, 0x3722, -v170
	v_fmac_f16_e32 v127, 0xb964, v56
	v_add_f16_e32 v17, v25, v17
	v_fma_f16 v19, v61, 0x3722, -v160
	v_add_f16_e32 v23, v41, v23
	v_add_f16_e32 v18, v20, v18
	;; [unrolled: 1-line block ×3, first 2 shown]
	v_fmac_f16_e32 v197, 0xba62, v53
	v_add_f16_e32 v21, v24, v21
	v_add_f16_e32 v24, v127, v43
	v_fmac_f16_e32 v124, 0xbb29, v53
	v_add_f16_e32 v17, v19, v17
	v_fma_f16 v19, v62, 0x2de8, -v189
	v_add_f16_e32 v20, v40, v23
	v_add_f16_e32 v15, v15, v18
	v_fma_f16 v96, v62, 0xb461, -v191
	v_add_f16_e32 v97, v197, v97
	v_fmac_f16_e32 v199, 0xb1e1, v52
	v_add_f16_e32 v24, v124, v24
	v_fmac_f16_e32 v159, 0xbbf7, v52
	v_add_f16_e32 v17, v19, v17
	v_add_f16_e32 v19, v38, v20
	;; [unrolled: 1-line block ×4, first 2 shown]
	v_fma_f16 v96, v63, 0x39e9, -v192
	v_add_f16_e32 v97, v199, v97
	v_fmac_f16_e32 v204, 0x3836, v54
	v_add_f16_e32 v24, v159, v24
	v_fmac_f16_e32 v142, 0xbbb2, v54
	v_fma_f16 v16, v63, 0xb461, -v161
	v_add_f16_e32 v19, v37, v19
	v_add_f16_e32 v13, v13, v15
	v_fmac_f16_e32 v155, 0xb836, v55
	v_add_f16_e32 v95, v96, v95
	v_fma_f16 v96, v65, 0x3b76, -v186
	v_add_f16_e32 v97, v204, v97
	v_fmac_f16_e32 v138, 0x3bb2, v55
	v_add_f16_e32 v24, v142, v24
	v_fmac_f16_e32 v110, 0xba62, v55
	v_add_f16_e32 v15, v16, v17
	v_fma_f16 v16, v65, 0xb8d2, -v151
	v_add_f16_e32 v17, v36, v19
	v_add_f16_e32 v13, v14, v13
	v_mul_lo_u16 v14, v31, 17
	v_fmac_f16_e32 v115, 0xb1e1, v60
	v_fmac_f16_e32 v135, 0xb5c8, v60
	v_add_f16_e32 v92, v155, v92
	v_fmac_f16_e32 v156, 0x3a62, v60
	v_fmac_f16_e32 v184, 0xbbf7, v60
	v_add_f16_e32 v95, v96, v95
	v_fma_f16 v96, v67, 0x2de8, -v188
	v_add_f16_e32 v97, v138, v97
	v_fmac_f16_e32 v137, 0x3b29, v60
	v_add_f16_e32 v18, v110, v24
	v_fmac_f16_e32 v139, 0xb836, v60
	v_add_f16_e32 v15, v16, v15
	v_fma_f16 v16, v67, 0xbacd, -v84
	v_add_f16_sdwa v17, v35, v17 dst_sel:WORD_1 dst_unused:UNUSED_PAD src0_sel:DWORD src1_sel:DWORD
	v_add_f16_e32 v13, v34, v13
	v_and_b32_e32 v14, 0xffff, v14
	v_fmac_f16_e32 v108, 0xbbb2, v66
	v_add_f16_e32 v88, v115, v88
	v_fmac_f16_e32 v140, 0x3b29, v66
	v_add_f16_e32 v90, v135, v90
	v_fmac_f16_e32 v165, 0xba62, v66
	v_fma_f16 v27, v68, 0x3b76, -v190
	v_add_f16_e32 v92, v156, v92
	v_fmac_f16_e32 v178, 0x3964, v66
	v_add_f16_e32 v94, v184, v94
	v_fmac_f16_e32 v203, 0xb836, v66
	v_add_f16_e32 v95, v96, v95
	v_fma_f16 v96, v68, 0xbacd, -v207
	v_add_f16_e32 v22, v137, v97
	v_fmac_f16_e32 v131, 0x35c8, v66
	v_add_f16_e32 v18, v139, v18
	v_fmac_f16_e32 v141, 0xb1e1, v66
	v_add_f16_e32 v15, v16, v15
	v_fma_f16 v16, v68, 0xbbdd, -v79
	v_or_b32_sdwa v13, v17, v13 dst_sel:DWORD dst_unused:UNUSED_PAD src0_sel:DWORD src1_sel:WORD_0
	v_lshl_add_u32 v14, v14, 2, v32
	v_add_f16_e32 v85, v108, v85
	v_pack_b32_f16 v17, v107, v105
	v_pack_b32_f16 v19, v80, v83
	v_add_f16_e32 v88, v140, v88
	v_add_f16_e32 v90, v165, v90
	v_add_f16_e32 v20, v27, v21
	v_pack_b32_f16 v21, v77, v76
	v_pack_b32_f16 v23, v86, v78
	v_add_f16_e32 v92, v178, v92
	v_add_f16_e32 v94, v203, v94
	;; [unrolled: 5-line block ×3, first 2 shown]
	v_add_f16_e32 v15, v16, v15
	ds_write_b32 v14, v13
	ds_write2_b32 v14, v19, v17 offset0:1 offset1:2
	ds_write2_b32 v14, v23, v21 offset0:3 offset1:4
	;; [unrolled: 1-line block ×3, first 2 shown]
	v_pack_b32_f16 v13, v69, v64
	v_pack_b32_f16 v16, v71, v70
	;; [unrolled: 1-line block ×10, first 2 shown]
	ds_write2_b32 v14, v16, v13 offset0:7 offset1:8
	ds_write2_b32 v14, v19, v17 offset0:9 offset1:10
	;; [unrolled: 1-line block ×5, first 2 shown]
.LBB0_13:
	s_or_b32 exec_lo, exec_lo, s0
	s_waitcnt lgkmcnt(0)
	s_barrier
	buffer_gl0_inv
	ds_read2_b32 v[13:14], v39 offset1:17
	ds_read2_b32 v[15:16], v39 offset0:34 offset1:51
	ds_read2_b32 v[17:18], v39 offset0:68 offset1:85
	;; [unrolled: 1-line block ×5, first 2 shown]
	ds_read_b32 v25, v39 offset:816
	s_waitcnt lgkmcnt(6)
	v_lshrrev_b32_e32 v26, 16, v14
	s_waitcnt lgkmcnt(5)
	v_lshrrev_b32_e32 v27, 16, v15
	v_lshrrev_b32_e32 v28, 16, v16
	s_waitcnt lgkmcnt(4)
	v_lshrrev_b32_e32 v32, 16, v17
	v_mul_f16_sdwa v41, v8, v14 dst_sel:DWORD dst_unused:UNUSED_PAD src0_sel:WORD_1 src1_sel:DWORD
	v_mul_f16_sdwa v44, v8, v26 dst_sel:DWORD dst_unused:UNUSED_PAD src0_sel:WORD_1 src1_sel:DWORD
	;; [unrolled: 1-line block ×4, first 2 shown]
	v_lshrrev_b32_e32 v34, 16, v18
	v_fma_f16 v26, v8, v26, -v41
	v_mul_f16_sdwa v41, v10, v28 dst_sel:DWORD dst_unused:UNUSED_PAD src0_sel:WORD_1 src1_sel:DWORD
	v_fmac_f16_e32 v44, v8, v14
	v_mul_f16_sdwa v14, v11, v32 dst_sel:DWORD dst_unused:UNUSED_PAD src0_sel:WORD_1 src1_sel:DWORD
	v_fma_f16 v27, v9, v27, -v42
	v_fmac_f16_e32 v45, v9, v15
	v_mul_f16_sdwa v8, v10, v16 dst_sel:DWORD dst_unused:UNUSED_PAD src0_sel:WORD_1 src1_sel:DWORD
	v_mul_f16_sdwa v15, v11, v17 dst_sel:DWORD dst_unused:UNUSED_PAD src0_sel:WORD_1 src1_sel:DWORD
	v_fmac_f16_e32 v41, v10, v16
	v_fmac_f16_e32 v14, v11, v17
	v_add_f16_e32 v16, v44, v13
	v_add_f16_sdwa v17, v26, v13 dst_sel:DWORD dst_unused:UNUSED_PAD src0_sel:DWORD src1_sel:WORD_1
	v_fma_f16 v10, v10, v28, -v8
	s_waitcnt lgkmcnt(3)
	v_lshrrev_b32_e32 v35, 16, v19
	v_mul_f16_sdwa v9, v4, v34 dst_sel:DWORD dst_unused:UNUSED_PAD src0_sel:WORD_1 src1_sel:DWORD
	v_add_f16_e32 v16, v16, v45
	v_add_f16_e32 v17, v17, v27
	v_fma_f16 v11, v11, v32, -v15
	v_mul_f16_sdwa v15, v4, v18 dst_sel:DWORD dst_unused:UNUSED_PAD src0_sel:WORD_1 src1_sel:DWORD
	v_lshrrev_b32_e32 v36, 16, v20
	v_add_f16_e32 v16, v16, v41
	v_add_f16_e32 v17, v17, v10
	s_waitcnt lgkmcnt(2)
	v_lshrrev_b32_e32 v37, 16, v21
	v_fmac_f16_e32 v9, v4, v18
	v_mul_f16_sdwa v8, v5, v35 dst_sel:DWORD dst_unused:UNUSED_PAD src0_sel:WORD_1 src1_sel:DWORD
	v_mul_f16_sdwa v18, v5, v19 dst_sel:DWORD dst_unused:UNUSED_PAD src0_sel:WORD_1 src1_sel:DWORD
	v_fma_f16 v15, v4, v34, -v15
	v_add_f16_e32 v16, v16, v14
	v_add_f16_e32 v17, v17, v11
	v_lshrrev_b32_e32 v38, 16, v22
	v_fmac_f16_e32 v8, v5, v19
	v_fma_f16 v5, v5, v35, -v18
	v_mul_f16_sdwa v4, v6, v36 dst_sel:DWORD dst_unused:UNUSED_PAD src0_sel:WORD_1 src1_sel:DWORD
	v_mul_f16_sdwa v18, v6, v20 dst_sel:DWORD dst_unused:UNUSED_PAD src0_sel:WORD_1 src1_sel:DWORD
	v_mul_f16_sdwa v19, v7, v37 dst_sel:DWORD dst_unused:UNUSED_PAD src0_sel:WORD_1 src1_sel:DWORD
	v_add_f16_e32 v16, v16, v9
	v_add_f16_e32 v17, v17, v15
	s_waitcnt lgkmcnt(1)
	v_lshrrev_b32_e32 v39, 16, v23
	v_fmac_f16_e32 v4, v6, v20
	v_fma_f16 v6, v6, v36, -v18
	v_fmac_f16_e32 v19, v7, v21
	v_mul_f16_sdwa v18, v7, v21 dst_sel:DWORD dst_unused:UNUSED_PAD src0_sel:WORD_1 src1_sel:DWORD
	v_mul_f16_sdwa v20, v0, v38 dst_sel:DWORD dst_unused:UNUSED_PAD src0_sel:WORD_1 src1_sel:DWORD
	;; [unrolled: 1-line block ×3, first 2 shown]
	v_add_f16_e32 v16, v16, v8
	v_add_f16_e32 v17, v17, v5
	v_lshrrev_b32_e32 v40, 16, v24
	v_fma_f16 v7, v7, v37, -v18
	v_fmac_f16_e32 v20, v0, v22
	v_fma_f16 v18, v0, v38, -v21
	v_mul_f16_sdwa v21, v1, v39 dst_sel:DWORD dst_unused:UNUSED_PAD src0_sel:WORD_1 src1_sel:DWORD
	v_mul_f16_sdwa v0, v1, v23 dst_sel:DWORD dst_unused:UNUSED_PAD src0_sel:WORD_1 src1_sel:DWORD
	v_add_f16_e32 v16, v16, v4
	v_add_f16_e32 v17, v17, v6
	s_waitcnt lgkmcnt(0)
	v_lshrrev_b32_e32 v43, 16, v25
	v_mul_f16_sdwa v22, v2, v40 dst_sel:DWORD dst_unused:UNUSED_PAD src0_sel:WORD_1 src1_sel:DWORD
	v_fmac_f16_e32 v21, v1, v23
	v_fma_f16 v1, v1, v39, -v0
	v_add_f16_e32 v0, v16, v19
	v_add_f16_e32 v16, v17, v7
	v_mul_f16_sdwa v17, v3, v25 dst_sel:DWORD dst_unused:UNUSED_PAD src0_sel:WORD_1 src1_sel:DWORD
	v_fmac_f16_e32 v22, v2, v24
	v_mul_f16_sdwa v23, v2, v24 dst_sel:DWORD dst_unused:UNUSED_PAD src0_sel:WORD_1 src1_sel:DWORD
	v_add_f16_e32 v0, v0, v20
	v_add_f16_e32 v16, v16, v18
	v_mul_f16_sdwa v24, v3, v43 dst_sel:DWORD dst_unused:UNUSED_PAD src0_sel:WORD_1 src1_sel:DWORD
	v_fma_f16 v17, v3, v43, -v17
	v_fma_f16 v2, v2, v40, -v23
	v_add_f16_e32 v0, v0, v21
	v_add_f16_e32 v16, v16, v1
	v_fmac_f16_e32 v24, v3, v25
	v_sub_f16_e32 v3, v26, v17
	v_add_f16_e32 v26, v26, v17
	v_add_f16_e32 v0, v0, v22
	;; [unrolled: 1-line block ×4, first 2 shown]
	v_mul_f16_e32 v25, 0xb770, v3
	v_sub_f16_e32 v52, v27, v2
	v_add_f16_e32 v0, v0, v24
	v_add_f16_sdwa v16, v16, v17 dst_sel:WORD_1 dst_unused:UNUSED_PAD src0_sel:DWORD src1_sel:DWORD
	v_sub_f16_e32 v17, v44, v24
	v_fmamk_f16 v24, v23, 0x3b15, v25
	v_mul_f16_e32 v28, 0x3b15, v26
	v_mul_f16_e32 v32, 0xba95, v3
	;; [unrolled: 1-line block ×11, first 2 shown]
	v_add_f16_e32 v54, v45, v22
	v_mul_f16_e32 v55, 0xba95, v52
	v_add_f16_e32 v2, v27, v2
	v_or_b32_sdwa v0, v16, v0 dst_sel:DWORD dst_unused:UNUSED_PAD src0_sel:DWORD src1_sel:WORD_0
	v_add_f16_e32 v16, v24, v13
	v_fmamk_f16 v24, v17, 0x3770, v28
	v_fma_f16 v25, v23, 0x3b15, -v25
	v_fmac_f16_e32 v28, 0xb770, v17
	v_fmamk_f16 v35, v23, 0x388b, v32
	v_fmamk_f16 v36, v17, 0x3a95, v34
	v_fma_f16 v32, v23, 0x388b, -v32
	v_fmac_f16_e32 v34, 0xba95, v17
	v_fmamk_f16 v38, v23, 0x2fb7, v37
	;; [unrolled: 4-line block ×5, first 2 shown]
	v_fmamk_f16 v53, v17, 0x33a8, v26
	v_fma_f16 v3, v23, 0xbbc4, -v3
	v_fmac_f16_e32 v26, 0xb3a8, v17
	v_sub_f16_e32 v17, v45, v22
	v_fmamk_f16 v22, v54, 0x388b, v55
	v_mul_f16_e32 v23, 0x388b, v2
	v_add_f16_sdwa v24, v24, v13 dst_sel:DWORD dst_unused:UNUSED_PAD src0_sel:DWORD src1_sel:WORD_1
	v_add_f16_e32 v25, v25, v13
	v_add_f16_sdwa v28, v28, v13 dst_sel:DWORD dst_unused:UNUSED_PAD src0_sel:DWORD src1_sel:WORD_1
	v_add_f16_e32 v35, v35, v13
	;; [unrolled: 2-line block ×12, first 2 shown]
	v_fmamk_f16 v22, v17, 0x3a95, v23
	v_mul_f16_e32 v26, 0xbb7b, v52
	v_fma_f16 v45, v54, 0x388b, -v55
	v_fmac_f16_e32 v23, 0xba95, v17
	v_mul_f16_e32 v53, 0xb5ac, v2
	v_add_f16_e32 v22, v22, v24
	v_fmamk_f16 v24, v54, 0xb5ac, v26
	v_add_f16_e32 v25, v45, v25
	v_add_f16_e32 v23, v23, v28
	v_fmamk_f16 v28, v17, 0x3b7b, v53
	v_mul_f16_e32 v45, 0xb3a8, v52
	v_fma_f16 v26, v54, 0xb5ac, -v26
	v_fmac_f16_e32 v53, 0xbb7b, v17
	v_add_f16_e32 v24, v24, v35
	v_add_f16_e32 v28, v28, v36
	v_fmamk_f16 v35, v54, 0xbbc4, v45
	v_mul_f16_e32 v36, 0xbbc4, v2
	v_add_f16_e32 v26, v26, v32
	v_add_f16_e32 v32, v53, v34
	v_mul_f16_e32 v34, 0x394e, v52
	v_add_f16_e32 v35, v35, v38
	v_fmamk_f16 v38, v17, 0x33a8, v36
	v_fmac_f16_e32 v36, 0xb3a8, v17
	v_mul_f16_e32 v55, 0xb9fd, v2
	v_fmamk_f16 v53, v54, 0xb9fd, v34
	v_fma_f16 v45, v54, 0xbbc4, -v45
	v_add_f16_e32 v38, v38, v42
	v_add_f16_e32 v36, v36, v39
	v_fmamk_f16 v42, v17, 0xb94e, v55
	v_add_f16_e32 v39, v53, v43
	v_mul_f16_e32 v43, 0x3bf1, v52
	v_add_f16_e32 v37, v45, v37
	v_fma_f16 v34, v54, 0xb9fd, -v34
	v_mul_f16_e32 v45, 0x2fb7, v2
	v_add_f16_e32 v42, v42, v46
	v_fmamk_f16 v46, v54, 0x2fb7, v43
	v_mul_f16_e32 v52, 0x3770, v52
	v_fma_f16 v43, v54, 0x2fb7, -v43
	v_add_f16_e32 v34, v34, v40
	v_fmamk_f16 v40, v17, 0xbbf1, v45
	v_add_f16_e32 v46, v46, v49
	v_fmac_f16_e32 v45, 0x3bf1, v17
	v_fmamk_f16 v49, v54, 0x3b15, v52
	v_add_f16_e32 v43, v43, v47
	v_sub_f16_e32 v47, v10, v1
	v_add_f16_e32 v40, v40, v50
	v_mul_f16_e32 v2, 0x3b15, v2
	v_add_f16_e32 v45, v45, v48
	v_add_f16_e32 v48, v49, v51
	;; [unrolled: 1-line block ×3, first 2 shown]
	v_mul_f16_e32 v51, 0xbbf1, v47
	v_add_f16_e32 v1, v10, v1
	v_fmac_f16_e32 v55, 0x394e, v17
	v_fmamk_f16 v49, v17, 0xb770, v2
	v_fma_f16 v10, v54, 0x3b15, -v52
	v_fmac_f16_e32 v2, 0x3770, v17
	v_sub_f16_e32 v17, v41, v21
	v_fmamk_f16 v21, v50, 0x2fb7, v51
	v_mul_f16_e32 v41, 0x2fb7, v1
	v_add_f16_e32 v27, v49, v27
	v_add_f16_e32 v3, v10, v3
	;; [unrolled: 1-line block ×4, first 2 shown]
	v_fmamk_f16 v13, v17, 0x3bf1, v41
	v_mul_f16_e32 v16, 0xb3a8, v47
	v_fma_f16 v21, v50, 0x2fb7, -v51
	v_fmac_f16_e32 v41, 0xbbf1, v17
	v_mul_f16_e32 v49, 0xbbc4, v1
	v_add_f16_e32 v13, v13, v22
	v_fmamk_f16 v22, v50, 0xbbc4, v16
	v_add_f16_e32 v21, v21, v25
	v_add_f16_e32 v23, v41, v23
	v_fmamk_f16 v25, v17, 0x33a8, v49
	v_mul_f16_e32 v41, 0x3b7b, v47
	v_fma_f16 v16, v50, 0xbbc4, -v16
	v_fmac_f16_e32 v49, 0xb3a8, v17
	v_add_f16_e32 v22, v22, v24
	v_add_f16_e32 v24, v25, v28
	v_fmamk_f16 v25, v50, 0xb5ac, v41
	v_mul_f16_e32 v28, 0xb5ac, v1
	v_add_f16_e32 v16, v16, v26
	v_add_f16_e32 v26, v49, v32
	v_mul_f16_e32 v32, 0x3770, v47
	v_add_f16_e32 v25, v25, v35
	v_fmamk_f16 v35, v17, 0xbb7b, v28
	v_fma_f16 v41, v50, 0xb5ac, -v41
	v_fmac_f16_e32 v28, 0x3b7b, v17
	v_fmamk_f16 v49, v50, 0x3b15, v32
	v_mul_f16_e32 v51, 0x3b15, v1
	v_add_f16_e32 v35, v35, v38
	v_add_f16_e32 v37, v41, v37
	;; [unrolled: 1-line block ×4, first 2 shown]
	v_fmamk_f16 v38, v17, 0xb770, v51
	v_mul_f16_e32 v39, 0xba95, v47
	v_fma_f16 v32, v50, 0x3b15, -v32
	v_mul_f16_e32 v41, 0x388b, v1
	v_mul_f16_e32 v47, 0xb94e, v47
	v_add_f16_e32 v38, v38, v42
	v_fmamk_f16 v42, v50, 0x388b, v39
	v_add_f16_e32 v32, v32, v34
	v_fmamk_f16 v34, v17, 0x3a95, v41
	v_fma_f16 v39, v50, 0x388b, -v39
	v_fmac_f16_e32 v41, 0xba95, v17
	v_add_f16_e32 v42, v42, v46
	v_mul_f16_e32 v1, 0xb9fd, v1
	v_add_f16_e32 v34, v34, v40
	v_fmamk_f16 v40, v50, 0xb9fd, v47
	v_add_f16_e32 v39, v39, v43
	v_sub_f16_e32 v43, v11, v18
	v_add_f16_e32 v46, v14, v20
	v_add_f16_e32 v11, v11, v18
	;; [unrolled: 1-line block ×3, first 2 shown]
	v_fmac_f16_e32 v51, 0x3770, v17
	v_mul_f16_e32 v48, 0xbb7b, v43
	v_add_f16_e32 v41, v41, v45
	v_fmamk_f16 v45, v17, 0x394e, v1
	v_fma_f16 v18, v50, 0xb9fd, -v47
	v_fmac_f16_e32 v1, 0xb94e, v17
	v_sub_f16_e32 v14, v14, v20
	v_fmamk_f16 v17, v46, 0xb5ac, v48
	v_mul_f16_e32 v20, 0xb5ac, v11
	v_add_f16_e32 v27, v45, v27
	v_add_f16_e32 v3, v18, v3
	;; [unrolled: 1-line block ×4, first 2 shown]
	v_fmamk_f16 v10, v14, 0x3b7b, v20
	v_mul_f16_e32 v17, 0x394e, v43
	v_fma_f16 v18, v46, 0xb5ac, -v48
	v_fmac_f16_e32 v20, 0xbb7b, v14
	v_mul_f16_e32 v45, 0xb9fd, v11
	v_add_f16_e32 v10, v10, v13
	v_fmamk_f16 v13, v46, 0xb9fd, v17
	v_add_f16_e32 v18, v18, v21
	v_add_f16_e32 v20, v20, v23
	v_fmamk_f16 v21, v14, 0xb94e, v45
	v_mul_f16_e32 v23, 0x3770, v43
	v_fma_f16 v17, v46, 0xb9fd, -v17
	v_fmac_f16_e32 v45, 0x394e, v14
	v_add_f16_e32 v13, v13, v22
	v_add_f16_e32 v21, v21, v24
	v_fmamk_f16 v22, v46, 0x3b15, v23
	v_mul_f16_e32 v24, 0x3b15, v11
	v_add_f16_e32 v16, v17, v16
	v_add_f16_e32 v17, v45, v26
	v_mul_f16_e32 v26, 0xbbf1, v43
	v_add_f16_e32 v22, v22, v25
	v_fmamk_f16 v25, v14, 0xb770, v24
	v_fmac_f16_e32 v24, 0x3770, v14
	v_mul_f16_e32 v47, 0x2fb7, v11
	v_fmamk_f16 v45, v46, 0x2fb7, v26
	v_add_f16_e32 v44, v55, v44
	v_fma_f16 v23, v46, 0x3b15, -v23
	v_add_f16_e32 v25, v25, v35
	v_add_f16_e32 v24, v24, v28
	;; [unrolled: 1-line block ×3, first 2 shown]
	v_fmamk_f16 v35, v14, 0x3bf1, v47
	v_mul_f16_e32 v36, 0x33a8, v43
	v_add_f16_e32 v44, v51, v44
	v_add_f16_e32 v23, v23, v37
	v_fma_f16 v26, v46, 0x2fb7, -v26
	v_fmac_f16_e32 v47, 0xbbf1, v14
	v_mul_f16_e32 v37, 0xbbc4, v11
	v_add_f16_e32 v35, v35, v38
	v_fmamk_f16 v38, v46, 0xbbc4, v36
	v_mul_f16_e32 v43, 0x3a95, v43
	v_fma_f16 v36, v46, 0xbbc4, -v36
	v_add_f16_e32 v26, v26, v32
	v_add_f16_e32 v32, v47, v44
	v_fmamk_f16 v44, v14, 0xb3a8, v37
	v_add_f16_e32 v38, v38, v42
	v_fmac_f16_e32 v37, 0x33a8, v14
	v_fmamk_f16 v42, v46, 0x388b, v43
	v_mul_f16_e32 v11, 0x388b, v11
	v_add_f16_e32 v36, v36, v39
	v_sub_f16_e32 v39, v15, v7
	v_add_f16_e32 v7, v15, v7
	v_add_f16_e32 v37, v37, v41
	;; [unrolled: 1-line block ×3, first 2 shown]
	v_fmamk_f16 v41, v14, 0xba95, v11
	v_add_f16_e32 v42, v9, v19
	v_mul_f16_e32 v15, 0xb94e, v39
	v_fmac_f16_e32 v11, 0x3a95, v14
	v_sub_f16_e32 v9, v9, v19
	v_mul_f16_e32 v14, 0xb9fd, v7
	v_add_f16_e32 v27, v41, v27
	v_fmamk_f16 v19, v42, 0xb9fd, v15
	v_add_f16_e32 v1, v11, v1
	v_fma_f16 v15, v42, 0xb9fd, -v15
	v_fmamk_f16 v11, v9, 0x394e, v14
	v_fmac_f16_e32 v14, 0xb94e, v9
	v_add_f16_e32 v2, v19, v2
	v_mul_f16_e32 v19, 0x3bf1, v39
	v_add_f16_e32 v15, v15, v18
	v_add_f16_e32 v10, v11, v10
	v_mul_f16_e32 v11, 0x2fb7, v7
	v_add_f16_e32 v14, v14, v20
	v_fmamk_f16 v41, v42, 0x2fb7, v19
	v_mul_f16_e32 v18, 0xba95, v39
	v_fma_f16 v19, v42, 0x2fb7, -v19
	v_fmamk_f16 v20, v9, 0xbbf1, v11
	v_fma_f16 v43, v46, 0x388b, -v43
	v_add_f16_e32 v13, v41, v13
	v_fmac_f16_e32 v11, 0x3bf1, v9
	v_fmamk_f16 v41, v42, 0x388b, v18
	v_add_f16_e32 v20, v20, v21
	v_mul_f16_e32 v21, 0x388b, v7
	v_add_f16_e32 v16, v19, v16
	v_mul_f16_e32 v19, 0x33a8, v39
	v_add_f16_e32 v3, v43, v3
	v_add_f16_e32 v11, v11, v17
	;; [unrolled: 1-line block ×3, first 2 shown]
	v_fmamk_f16 v22, v9, 0x3a95, v21
	v_fma_f16 v18, v42, 0x388b, -v18
	v_fmac_f16_e32 v21, 0xba95, v9
	v_mul_f16_e32 v41, 0xbbc4, v7
	v_fmamk_f16 v43, v42, 0xbbc4, v19
	v_add_f16_e32 v22, v22, v25
	v_add_f16_e32 v18, v18, v23
	;; [unrolled: 1-line block ×3, first 2 shown]
	v_fmamk_f16 v23, v9, 0xb3a8, v41
	v_add_f16_e32 v24, v43, v28
	v_mul_f16_e32 v25, 0x3770, v39
	v_fma_f16 v19, v42, 0xbbc4, -v19
	v_fmac_f16_e32 v41, 0x33a8, v9
	v_mul_f16_e32 v28, 0x3b15, v7
	v_add_f16_e32 v23, v23, v35
	v_fmamk_f16 v35, v42, 0x3b15, v25
	v_add_f16_e32 v19, v19, v26
	v_add_f16_e32 v26, v41, v32
	v_mul_f16_e32 v32, 0xbb7b, v39
	v_fmamk_f16 v39, v9, 0xb770, v28
	v_fmac_f16_e32 v28, 0x3770, v9
	v_add_f16_e32 v34, v44, v34
	v_add_f16_e32 v35, v35, v38
	v_fma_f16 v25, v42, 0x3b15, -v25
	v_fmamk_f16 v38, v42, 0xb5ac, v32
	v_mul_f16_e32 v7, 0xb5ac, v7
	v_add_f16_e32 v28, v28, v37
	v_sub_f16_e32 v37, v5, v6
	v_add_f16_e32 v5, v5, v6
	v_add_f16_e32 v34, v39, v34
	;; [unrolled: 1-line block ×4, first 2 shown]
	v_fmamk_f16 v38, v9, 0x3b7b, v7
	v_fma_f16 v32, v42, 0xb5ac, -v32
	v_add_f16_e32 v6, v8, v4
	v_mul_f16_e32 v39, 0xb3a8, v37
	v_fmac_f16_e32 v7, 0xbb7b, v9
	v_sub_f16_e32 v4, v8, v4
	v_mul_f16_e32 v8, 0xbbc4, v5
	v_add_f16_e32 v9, v38, v27
	v_fmamk_f16 v27, v6, 0xbbc4, v39
	v_add_f16_e32 v3, v32, v3
	v_add_f16_e32 v1, v7, v1
	v_fmamk_f16 v7, v4, 0x33a8, v8
	v_mul_f16_e32 v32, 0x3770, v37
	v_add_f16_e32 v2, v27, v2
	v_fma_f16 v27, v6, 0xbbc4, -v39
	v_fmac_f16_e32 v8, 0xb3a8, v4
	v_add_f16_e32 v7, v7, v10
	v_fmamk_f16 v10, v6, 0x3b15, v32
	v_mul_f16_e32 v38, 0x3b15, v5
	v_add_f16_e32 v15, v27, v15
	v_add_f16_e32 v8, v8, v14
	v_mul_f16_e32 v14, 0xb94e, v37
	v_add_f16_e32 v10, v10, v13
	v_fmamk_f16 v13, v4, 0xb770, v38
	v_fma_f16 v27, v6, 0x3b15, -v32
	v_mul_f16_e32 v39, 0xb9fd, v5
	v_fmamk_f16 v32, v6, 0xb9fd, v14
	v_fmac_f16_e32 v38, 0x3770, v4
	v_add_f16_e32 v13, v13, v20
	v_add_f16_e32 v16, v27, v16
	v_fmamk_f16 v20, v4, 0x394e, v39
	v_mul_f16_e32 v27, 0x3a95, v37
	v_add_f16_e32 v17, v32, v17
	v_fma_f16 v14, v6, 0xb9fd, -v14
	v_fmac_f16_e32 v39, 0xb94e, v4
	v_mul_f16_e32 v32, 0x388b, v5
	v_add_f16_e32 v20, v20, v22
	v_fmamk_f16 v22, v6, 0x388b, v27
	v_add_f16_e32 v11, v38, v11
	v_add_f16_e32 v14, v14, v18
	;; [unrolled: 1-line block ×3, first 2 shown]
	v_fmamk_f16 v21, v4, 0xba95, v32
	v_mul_f16_e32 v38, 0xbb7b, v37
	v_add_f16_e32 v22, v22, v24
	v_fma_f16 v24, v6, 0x388b, -v27
	v_fmac_f16_e32 v32, 0x3a95, v4
	v_mul_f16_e32 v27, 0xb5ac, v5
	v_add_f16_e32 v21, v21, v23
	v_fmamk_f16 v23, v6, 0xb5ac, v38
	v_add_f16_e32 v19, v24, v19
	v_add_f16_e32 v24, v32, v26
	v_mul_f16_e32 v26, 0x3bf1, v37
	v_fmamk_f16 v32, v4, 0x3b7b, v27
	v_mul_f16_e32 v5, 0x2fb7, v5
	v_add_f16_e32 v23, v23, v35
	v_fma_f16 v35, v6, 0xb5ac, -v38
	v_fmac_f16_e32 v27, 0xbb7b, v4
	v_fmamk_f16 v37, v6, 0x2fb7, v26
	v_add_f16_e32 v32, v32, v34
	v_fmamk_f16 v34, v4, 0xbbf1, v5
	v_fma_f16 v6, v6, 0x2fb7, -v26
	v_fmac_f16_e32 v5, 0x3bf1, v4
	v_pack_b32_f16 v2, v2, v7
	v_add_f16_e32 v27, v27, v28
	v_add_f16_e32 v28, v37, v36
	v_pack_b32_f16 v4, v10, v13
	v_pack_b32_f16 v7, v17, v20
	v_add_f16_e32 v9, v34, v9
	v_add_f16_e32 v3, v6, v3
	;; [unrolled: 1-line block ×4, first 2 shown]
	ds_write2_b32 v33, v0, v2 offset1:17
	ds_write2_b32 v33, v4, v7 offset0:34 offset1:51
	v_pack_b32_f16 v0, v22, v21
	v_pack_b32_f16 v2, v23, v32
	;; [unrolled: 1-line block ×9, first 2 shown]
	ds_write2_b32 v33, v0, v2 offset0:68 offset1:85
	ds_write2_b32 v33, v4, v1 offset0:102 offset1:119
	;; [unrolled: 1-line block ×4, first 2 shown]
	ds_write_b32 v33, v8 offset:816
	s_waitcnt lgkmcnt(0)
	s_barrier
	buffer_gl0_inv
	s_and_b32 exec_lo, exec_lo, vcc_lo
	s_cbranch_execz .LBB0_15
; %bb.14:
	global_load_dword v0, v30, s[12:13]
	ds_read_b32 v1, v33
	s_mov_b32 s8, 0x1288b013
	s_mov_b32 s9, 0x3f7288b0
	v_mad_u64_u32 v[6:7], null, s4, v31, 0
	s_mul_hi_u32 s3, s4, 52
	s_waitcnt lgkmcnt(0)
	v_lshrrev_b32_e32 v2, 16, v1
	s_waitcnt vmcnt(0)
	v_mul_f16_sdwa v3, v2, v0 dst_sel:DWORD dst_unused:UNUSED_PAD src0_sel:DWORD src1_sel:WORD_1
	v_mul_f16_sdwa v4, v1, v0 dst_sel:DWORD dst_unused:UNUSED_PAD src0_sel:DWORD src1_sel:WORD_1
	v_fmac_f16_e32 v3, v1, v0
	v_fma_f16 v0, v0, v2, -v4
	v_mad_u64_u32 v[4:5], null, s6, v12, 0
	s_mul_i32 s6, s4, 52
	v_cvt_f32_f16_e32 v1, v3
	v_cvt_f32_f16_e32 v2, v0
	v_cvt_f64_f32_e32 v[0:1], v1
	v_cvt_f64_f32_e32 v[2:3], v2
	v_mul_f64 v[0:1], v[0:1], s[8:9]
	v_mul_f64 v[2:3], v[2:3], s[8:9]
	v_and_or_b32 v0, 0x1ff, v1, v0
	v_and_or_b32 v2, 0x1ff, v3, v2
	v_lshrrev_b32_e32 v8, 8, v1
	v_bfe_u32 v10, v1, 20, 11
	v_bfe_u32 v11, v3, 20, 11
	v_cmp_ne_u32_e32 vcc_lo, 0, v0
	v_lshrrev_b32_e32 v9, 8, v3
	v_mov_b32_e32 v0, v7
	v_sub_nc_u32_e32 v14, 0x3f1, v10
	v_sub_nc_u32_e32 v15, 0x3f1, v11
	v_cndmask_b32_e64 v13, 0, 1, vcc_lo
	v_cmp_ne_u32_e32 vcc_lo, 0, v2
	v_add_nc_u32_e32 v10, 0xfffffc10, v10
	v_add_nc_u32_e32 v11, 0xfffffc10, v11
	v_lshrrev_b32_e32 v3, 16, v3
	v_and_or_b32 v13, 0xffe, v8, v13
	v_cndmask_b32_e64 v2, 0, 1, vcc_lo
	v_mad_u64_u32 v[7:8], null, s7, v12, v[5:6]
	v_med3_i32 v12, v14, 0, 13
	v_med3_i32 v14, v15, 0, 13
	v_and_or_b32 v2, 0xffe, v9, v2
	v_or_b32_e32 v15, 0x1000, v13
	v_mad_u64_u32 v[8:9], null, s5, v31, v[0:1]
	v_mov_b32_e32 v5, v7
	v_or_b32_e32 v16, 0x1000, v2
	v_lshrrev_b32_e32 v0, v12, v15
	v_lshrrev_b32_e32 v1, 16, v1
	v_lshlrev_b64 v[4:5], 2, v[4:5]
	v_lshrrev_b32_e32 v9, v14, v16
	v_lshlrev_b32_e32 v12, v12, v0
	v_mov_b32_e32 v7, v8
	v_lshlrev_b32_e32 v8, v14, v9
	v_cmp_ne_u32_e32 vcc_lo, v12, v15
	v_lshl_or_b32 v14, v10, 12, v13
	v_lshlrev_b64 v[6:7], 2, v[6:7]
	v_cndmask_b32_e64 v12, 0, 1, vcc_lo
	v_cmp_ne_u32_e32 vcc_lo, v8, v16
	v_or_b32_e32 v0, v0, v12
	v_cndmask_b32_e64 v8, 0, 1, vcc_lo
	v_cmp_gt_i32_e32 vcc_lo, 1, v10
	v_lshl_or_b32 v12, v11, 12, v2
	v_or_b32_e32 v8, v9, v8
	v_cndmask_b32_e32 v0, v14, v0, vcc_lo
	v_cmp_gt_i32_e32 vcc_lo, 1, v11
	v_cndmask_b32_e32 v8, v12, v8, vcc_lo
	v_cmp_ne_u32_e32 vcc_lo, 0, v13
	v_and_b32_e32 v12, 7, v0
	v_lshrrev_b32_e32 v0, 2, v0
	v_and_b32_e32 v13, 7, v8
	v_cndmask_b32_e64 v9, 0, 1, vcc_lo
	v_cmp_ne_u32_e32 vcc_lo, 0, v2
	v_cmp_eq_u32_e64 s0, 3, v12
	v_lshrrev_b32_e32 v8, 2, v8
	v_cmp_lt_i32_e64 s1, 5, v13
	v_cmp_eq_u32_e64 s2, 3, v13
	v_cndmask_b32_e64 v2, 0, 1, vcc_lo
	v_cmp_lt_i32_e32 vcc_lo, 5, v12
	v_lshl_or_b32 v9, v9, 9, 0x7c00
	v_lshl_or_b32 v2, v2, 9, 0x7c00
	s_or_b32 vcc_lo, s0, vcc_lo
	v_add_co_ci_u32_e32 v0, vcc_lo, 0, v0, vcc_lo
	s_or_b32 vcc_lo, s2, s1
	v_add_co_ci_u32_e32 v8, vcc_lo, 0, v8, vcc_lo
	v_cmp_gt_i32_e32 vcc_lo, 31, v10
	v_cndmask_b32_e32 v0, 0x7c00, v0, vcc_lo
	v_cmp_gt_i32_e32 vcc_lo, 31, v11
	v_cndmask_b32_e32 v8, 0x7c00, v8, vcc_lo
	v_cmp_eq_u32_e32 vcc_lo, 0x40f, v10
	v_cndmask_b32_e32 v0, v0, v9, vcc_lo
	v_cmp_eq_u32_e32 vcc_lo, 0x40f, v11
	v_cndmask_b32_e32 v2, v8, v2, vcc_lo
	v_and_or_b32 v8, 0x8000, v1, v0
	v_add_co_u32 v0, vcc_lo, s14, v4
	v_add_co_ci_u32_e32 v1, vcc_lo, s15, v5, vcc_lo
	v_and_or_b32 v4, 0x8000, v3, v2
	v_and_b32_e32 v5, 0xffff, v8
	v_add_co_u32 v2, vcc_lo, v0, v6
	v_add_co_ci_u32_e32 v3, vcc_lo, v1, v7, vcc_lo
	v_lshl_or_b32 v4, v4, 16, v5
	global_store_dword v[2:3], v4, off
	global_load_dword v6, v30, s[12:13] offset:52
	ds_read2_b32 v[4:5], v33 offset0:13 offset1:26
	s_waitcnt lgkmcnt(0)
	v_lshrrev_b32_e32 v7, 16, v4
	s_waitcnt vmcnt(0)
	v_mul_f16_sdwa v8, v7, v6 dst_sel:DWORD dst_unused:UNUSED_PAD src0_sel:DWORD src1_sel:WORD_1
	v_mul_f16_sdwa v9, v4, v6 dst_sel:DWORD dst_unused:UNUSED_PAD src0_sel:DWORD src1_sel:WORD_1
	v_fmac_f16_e32 v8, v4, v6
	v_fma_f16 v4, v6, v7, -v9
	v_cvt_f32_f16_e32 v6, v8
	v_cvt_f32_f16_e32 v4, v4
	v_cvt_f64_f32_e32 v[6:7], v6
	v_cvt_f64_f32_e32 v[8:9], v4
	v_mul_f64 v[6:7], v[6:7], s[8:9]
	v_mul_f64 v[8:9], v[8:9], s[8:9]
	v_and_or_b32 v4, 0x1ff, v7, v6
	v_and_or_b32 v8, 0x1ff, v9, v8
	v_lshrrev_b32_e32 v6, 8, v7
	v_bfe_u32 v10, v7, 20, 11
	v_lshrrev_b32_e32 v11, 8, v9
	v_cmp_ne_u32_e32 vcc_lo, 0, v4
	v_bfe_u32 v12, v9, 20, 11
	v_lshrrev_b32_e32 v7, 16, v7
	v_sub_nc_u32_e32 v13, 0x3f1, v10
	v_add_nc_u32_e32 v10, 0xfffffc10, v10
	v_cndmask_b32_e64 v4, 0, 1, vcc_lo
	v_cmp_ne_u32_e32 vcc_lo, 0, v8
	v_lshrrev_b32_e32 v9, 16, v9
	v_and_or_b32 v4, 0xffe, v6, v4
	v_cndmask_b32_e64 v8, 0, 1, vcc_lo
	v_sub_nc_u32_e32 v6, 0x3f1, v12
	v_add_nc_u32_e32 v12, 0xfffffc10, v12
	v_and_or_b32 v8, 0xffe, v11, v8
	v_med3_i32 v11, v13, 0, 13
	v_or_b32_e32 v13, 0x1000, v4
	v_med3_i32 v6, v6, 0, 13
	v_or_b32_e32 v14, 0x1000, v8
	v_lshrrev_b32_e32 v15, v11, v13
	v_lshrrev_b32_e32 v16, v6, v14
	v_lshlrev_b32_e32 v11, v11, v15
	v_lshlrev_b32_e32 v6, v6, v16
	v_cmp_ne_u32_e32 vcc_lo, v11, v13
	v_lshl_or_b32 v13, v10, 12, v4
	v_cndmask_b32_e64 v11, 0, 1, vcc_lo
	v_cmp_ne_u32_e32 vcc_lo, v6, v14
	v_lshl_or_b32 v14, v12, 12, v8
	v_or_b32_e32 v11, v15, v11
	v_cndmask_b32_e64 v6, 0, 1, vcc_lo
	v_cmp_gt_i32_e32 vcc_lo, 1, v10
	v_or_b32_e32 v6, v16, v6
	v_cndmask_b32_e32 v11, v13, v11, vcc_lo
	v_cmp_gt_i32_e32 vcc_lo, 1, v12
	v_and_b32_e32 v13, 7, v11
	v_cndmask_b32_e32 v6, v14, v6, vcc_lo
	v_cmp_ne_u32_e32 vcc_lo, 0, v4
	v_lshrrev_b32_e32 v11, 2, v11
	v_cmp_eq_u32_e64 s0, 3, v13
	v_and_b32_e32 v14, 7, v6
	v_cndmask_b32_e64 v4, 0, 1, vcc_lo
	v_cmp_ne_u32_e32 vcc_lo, 0, v8
	v_lshrrev_b32_e32 v6, 2, v6
	v_cmp_lt_i32_e64 s1, 5, v14
	v_cmp_eq_u32_e64 s2, 3, v14
	v_cndmask_b32_e64 v8, 0, 1, vcc_lo
	v_cmp_lt_i32_e32 vcc_lo, 5, v13
	v_lshl_or_b32 v4, v4, 9, 0x7c00
	v_lshl_or_b32 v8, v8, 9, 0x7c00
	s_or_b32 vcc_lo, s0, vcc_lo
	s_mul_i32 s0, s5, 52
	v_add_co_ci_u32_e32 v11, vcc_lo, 0, v11, vcc_lo
	s_or_b32 vcc_lo, s2, s1
	s_add_i32 s3, s3, s0
	v_add_co_ci_u32_e32 v6, vcc_lo, 0, v6, vcc_lo
	v_cmp_gt_i32_e32 vcc_lo, 31, v10
	v_cndmask_b32_e32 v11, 0x7c00, v11, vcc_lo
	v_cmp_gt_i32_e32 vcc_lo, 31, v12
	v_cndmask_b32_e32 v6, 0x7c00, v6, vcc_lo
	v_cmp_eq_u32_e32 vcc_lo, 0x40f, v10
	v_cndmask_b32_e32 v4, v11, v4, vcc_lo
	v_cmp_eq_u32_e32 vcc_lo, 0x40f, v12
	v_and_or_b32 v4, 0x8000, v7, v4
	v_cndmask_b32_e32 v6, v6, v8, vcc_lo
	v_add_co_u32 v2, vcc_lo, v2, s6
	v_add_co_ci_u32_e32 v3, vcc_lo, s3, v3, vcc_lo
	v_and_or_b32 v6, 0x8000, v9, v6
	v_and_b32_e32 v4, 0xffff, v4
	v_lshl_or_b32 v4, v6, 16, v4
	v_lshrrev_b32_e32 v6, 16, v5
	global_store_dword v[2:3], v4, off
	global_load_dword v4, v30, s[12:13] offset:104
	s_waitcnt vmcnt(0)
	v_mul_f16_sdwa v7, v6, v4 dst_sel:DWORD dst_unused:UNUSED_PAD src0_sel:DWORD src1_sel:WORD_1
	v_mul_f16_sdwa v8, v5, v4 dst_sel:DWORD dst_unused:UNUSED_PAD src0_sel:DWORD src1_sel:WORD_1
	v_fmac_f16_e32 v7, v5, v4
	v_fma_f16 v4, v4, v6, -v8
	v_cvt_f32_f16_e32 v5, v7
	v_cvt_f32_f16_e32 v6, v4
	v_cvt_f64_f32_e32 v[4:5], v5
	v_cvt_f64_f32_e32 v[6:7], v6
	v_mul_f64 v[4:5], v[4:5], s[8:9]
	v_mul_f64 v[6:7], v[6:7], s[8:9]
	v_and_or_b32 v4, 0x1ff, v5, v4
	v_and_or_b32 v6, 0x1ff, v7, v6
	v_lshrrev_b32_e32 v8, 8, v5
	v_bfe_u32 v9, v5, 20, 11
	v_lshrrev_b32_e32 v10, 8, v7
	v_cmp_ne_u32_e32 vcc_lo, 0, v4
	v_bfe_u32 v11, v7, 20, 11
	v_lshrrev_b32_e32 v5, 16, v5
	v_sub_nc_u32_e32 v12, 0x3f1, v9
	v_add_nc_u32_e32 v9, 0xfffffc10, v9
	v_cndmask_b32_e64 v4, 0, 1, vcc_lo
	v_cmp_ne_u32_e32 vcc_lo, 0, v6
	v_lshrrev_b32_e32 v7, 16, v7
	v_and_or_b32 v4, 0xffe, v8, v4
	v_cndmask_b32_e64 v6, 0, 1, vcc_lo
	v_sub_nc_u32_e32 v8, 0x3f1, v11
	v_add_nc_u32_e32 v11, 0xfffffc10, v11
	v_and_or_b32 v6, 0xffe, v10, v6
	v_med3_i32 v10, v12, 0, 13
	v_or_b32_e32 v12, 0x1000, v4
	v_med3_i32 v8, v8, 0, 13
	v_or_b32_e32 v13, 0x1000, v6
	v_lshrrev_b32_e32 v14, v10, v12
	v_lshrrev_b32_e32 v15, v8, v13
	v_lshlrev_b32_e32 v10, v10, v14
	v_lshlrev_b32_e32 v8, v8, v15
	v_cmp_ne_u32_e32 vcc_lo, v10, v12
	v_lshl_or_b32 v12, v9, 12, v4
	v_cndmask_b32_e64 v10, 0, 1, vcc_lo
	v_cmp_ne_u32_e32 vcc_lo, v8, v13
	v_lshl_or_b32 v13, v11, 12, v6
	v_or_b32_e32 v10, v14, v10
	v_cndmask_b32_e64 v8, 0, 1, vcc_lo
	v_cmp_gt_i32_e32 vcc_lo, 1, v9
	v_or_b32_e32 v8, v15, v8
	v_cndmask_b32_e32 v10, v12, v10, vcc_lo
	v_cmp_gt_i32_e32 vcc_lo, 1, v11
	v_and_b32_e32 v12, 7, v10
	v_cndmask_b32_e32 v8, v13, v8, vcc_lo
	v_cmp_ne_u32_e32 vcc_lo, 0, v4
	v_lshrrev_b32_e32 v10, 2, v10
	v_cmp_eq_u32_e64 s0, 3, v12
	v_and_b32_e32 v13, 7, v8
	v_cndmask_b32_e64 v4, 0, 1, vcc_lo
	v_cmp_ne_u32_e32 vcc_lo, 0, v6
	v_lshrrev_b32_e32 v8, 2, v8
	v_cmp_lt_i32_e64 s1, 5, v13
	v_cmp_eq_u32_e64 s2, 3, v13
	v_cndmask_b32_e64 v6, 0, 1, vcc_lo
	v_cmp_lt_i32_e32 vcc_lo, 5, v12
	v_lshl_or_b32 v4, v4, 9, 0x7c00
	v_lshl_or_b32 v6, v6, 9, 0x7c00
	s_or_b32 vcc_lo, s0, vcc_lo
	v_add_co_ci_u32_e32 v10, vcc_lo, 0, v10, vcc_lo
	s_or_b32 vcc_lo, s2, s1
	v_add_co_ci_u32_e32 v8, vcc_lo, 0, v8, vcc_lo
	v_cmp_gt_i32_e32 vcc_lo, 31, v9
	v_cndmask_b32_e32 v10, 0x7c00, v10, vcc_lo
	v_cmp_gt_i32_e32 vcc_lo, 31, v11
	v_cndmask_b32_e32 v8, 0x7c00, v8, vcc_lo
	v_cmp_eq_u32_e32 vcc_lo, 0x40f, v9
	v_cndmask_b32_e32 v4, v10, v4, vcc_lo
	v_cmp_eq_u32_e32 vcc_lo, 0x40f, v11
	v_and_or_b32 v4, 0x8000, v5, v4
	v_cndmask_b32_e32 v6, v8, v6, vcc_lo
	v_add_co_u32 v2, vcc_lo, v2, s6
	v_add_co_ci_u32_e32 v3, vcc_lo, s3, v3, vcc_lo
	v_and_or_b32 v5, 0x8000, v7, v6
	v_and_b32_e32 v4, 0xffff, v4
	v_lshl_or_b32 v4, v5, 16, v4
	global_store_dword v[2:3], v4, off
	global_load_dword v6, v30, s[12:13] offset:156
	ds_read2_b32 v[4:5], v33 offset0:39 offset1:52
	s_waitcnt lgkmcnt(0)
	v_lshrrev_b32_e32 v7, 16, v4
	s_waitcnt vmcnt(0)
	v_mul_f16_sdwa v8, v7, v6 dst_sel:DWORD dst_unused:UNUSED_PAD src0_sel:DWORD src1_sel:WORD_1
	v_mul_f16_sdwa v9, v4, v6 dst_sel:DWORD dst_unused:UNUSED_PAD src0_sel:DWORD src1_sel:WORD_1
	v_fmac_f16_e32 v8, v4, v6
	v_fma_f16 v4, v6, v7, -v9
	v_cvt_f32_f16_e32 v6, v8
	v_cvt_f32_f16_e32 v4, v4
	v_cvt_f64_f32_e32 v[6:7], v6
	v_cvt_f64_f32_e32 v[8:9], v4
	v_mul_f64 v[6:7], v[6:7], s[8:9]
	v_mul_f64 v[8:9], v[8:9], s[8:9]
	v_and_or_b32 v4, 0x1ff, v7, v6
	v_and_or_b32 v8, 0x1ff, v9, v8
	v_lshrrev_b32_e32 v6, 8, v7
	v_bfe_u32 v10, v7, 20, 11
	v_lshrrev_b32_e32 v11, 8, v9
	v_cmp_ne_u32_e32 vcc_lo, 0, v4
	v_bfe_u32 v12, v9, 20, 11
	v_lshrrev_b32_e32 v7, 16, v7
	v_sub_nc_u32_e32 v13, 0x3f1, v10
	v_add_nc_u32_e32 v10, 0xfffffc10, v10
	v_cndmask_b32_e64 v4, 0, 1, vcc_lo
	v_cmp_ne_u32_e32 vcc_lo, 0, v8
	v_lshrrev_b32_e32 v9, 16, v9
	v_and_or_b32 v4, 0xffe, v6, v4
	v_cndmask_b32_e64 v8, 0, 1, vcc_lo
	v_sub_nc_u32_e32 v6, 0x3f1, v12
	v_add_nc_u32_e32 v12, 0xfffffc10, v12
	v_and_or_b32 v8, 0xffe, v11, v8
	v_med3_i32 v11, v13, 0, 13
	v_or_b32_e32 v13, 0x1000, v4
	v_med3_i32 v6, v6, 0, 13
	v_or_b32_e32 v14, 0x1000, v8
	v_lshrrev_b32_e32 v15, v11, v13
	v_lshrrev_b32_e32 v16, v6, v14
	v_lshlrev_b32_e32 v11, v11, v15
	v_lshlrev_b32_e32 v6, v6, v16
	v_cmp_ne_u32_e32 vcc_lo, v11, v13
	v_lshl_or_b32 v13, v10, 12, v4
	v_cndmask_b32_e64 v11, 0, 1, vcc_lo
	v_cmp_ne_u32_e32 vcc_lo, v6, v14
	v_lshl_or_b32 v14, v12, 12, v8
	v_or_b32_e32 v11, v15, v11
	v_cndmask_b32_e64 v6, 0, 1, vcc_lo
	v_cmp_gt_i32_e32 vcc_lo, 1, v10
	v_or_b32_e32 v6, v16, v6
	v_cndmask_b32_e32 v11, v13, v11, vcc_lo
	v_cmp_gt_i32_e32 vcc_lo, 1, v12
	v_and_b32_e32 v13, 7, v11
	v_cndmask_b32_e32 v6, v14, v6, vcc_lo
	v_cmp_ne_u32_e32 vcc_lo, 0, v4
	v_lshrrev_b32_e32 v11, 2, v11
	v_cmp_eq_u32_e64 s0, 3, v13
	v_and_b32_e32 v14, 7, v6
	v_cndmask_b32_e64 v4, 0, 1, vcc_lo
	v_cmp_ne_u32_e32 vcc_lo, 0, v8
	v_lshrrev_b32_e32 v6, 2, v6
	v_cmp_lt_i32_e64 s1, 5, v14
	v_cmp_eq_u32_e64 s2, 3, v14
	v_cndmask_b32_e64 v8, 0, 1, vcc_lo
	v_cmp_lt_i32_e32 vcc_lo, 5, v13
	v_lshl_or_b32 v4, v4, 9, 0x7c00
	v_lshl_or_b32 v8, v8, 9, 0x7c00
	s_or_b32 vcc_lo, s0, vcc_lo
	v_add_co_ci_u32_e32 v11, vcc_lo, 0, v11, vcc_lo
	s_or_b32 vcc_lo, s2, s1
	v_add_co_ci_u32_e32 v6, vcc_lo, 0, v6, vcc_lo
	v_cmp_gt_i32_e32 vcc_lo, 31, v10
	v_cndmask_b32_e32 v11, 0x7c00, v11, vcc_lo
	v_cmp_gt_i32_e32 vcc_lo, 31, v12
	v_cndmask_b32_e32 v6, 0x7c00, v6, vcc_lo
	v_cmp_eq_u32_e32 vcc_lo, 0x40f, v10
	v_cndmask_b32_e32 v4, v11, v4, vcc_lo
	v_cmp_eq_u32_e32 vcc_lo, 0x40f, v12
	v_and_or_b32 v4, 0x8000, v7, v4
	v_cndmask_b32_e32 v6, v6, v8, vcc_lo
	v_add_co_u32 v2, vcc_lo, v2, s6
	v_add_co_ci_u32_e32 v3, vcc_lo, s3, v3, vcc_lo
	v_and_or_b32 v6, 0x8000, v9, v6
	v_and_b32_e32 v4, 0xffff, v4
	v_lshl_or_b32 v4, v6, 16, v4
	v_lshrrev_b32_e32 v6, 16, v5
	global_store_dword v[2:3], v4, off
	global_load_dword v4, v30, s[12:13] offset:208
	s_waitcnt vmcnt(0)
	v_mul_f16_sdwa v7, v6, v4 dst_sel:DWORD dst_unused:UNUSED_PAD src0_sel:DWORD src1_sel:WORD_1
	v_mul_f16_sdwa v8, v5, v4 dst_sel:DWORD dst_unused:UNUSED_PAD src0_sel:DWORD src1_sel:WORD_1
	v_fmac_f16_e32 v7, v5, v4
	v_fma_f16 v4, v4, v6, -v8
	v_cvt_f32_f16_e32 v5, v7
	v_cvt_f32_f16_e32 v6, v4
	v_cvt_f64_f32_e32 v[4:5], v5
	v_cvt_f64_f32_e32 v[6:7], v6
	v_mul_f64 v[4:5], v[4:5], s[8:9]
	v_mul_f64 v[6:7], v[6:7], s[8:9]
	v_and_or_b32 v4, 0x1ff, v5, v4
	v_and_or_b32 v6, 0x1ff, v7, v6
	v_lshrrev_b32_e32 v8, 8, v5
	v_bfe_u32 v9, v5, 20, 11
	v_lshrrev_b32_e32 v10, 8, v7
	v_cmp_ne_u32_e32 vcc_lo, 0, v4
	v_bfe_u32 v11, v7, 20, 11
	v_lshrrev_b32_e32 v5, 16, v5
	v_sub_nc_u32_e32 v12, 0x3f1, v9
	v_add_nc_u32_e32 v9, 0xfffffc10, v9
	v_cndmask_b32_e64 v4, 0, 1, vcc_lo
	v_cmp_ne_u32_e32 vcc_lo, 0, v6
	v_lshrrev_b32_e32 v7, 16, v7
	v_and_or_b32 v4, 0xffe, v8, v4
	v_cndmask_b32_e64 v6, 0, 1, vcc_lo
	v_sub_nc_u32_e32 v8, 0x3f1, v11
	v_add_nc_u32_e32 v11, 0xfffffc10, v11
	v_and_or_b32 v6, 0xffe, v10, v6
	v_med3_i32 v10, v12, 0, 13
	v_or_b32_e32 v12, 0x1000, v4
	v_med3_i32 v8, v8, 0, 13
	v_or_b32_e32 v13, 0x1000, v6
	v_lshrrev_b32_e32 v14, v10, v12
	v_lshrrev_b32_e32 v15, v8, v13
	v_lshlrev_b32_e32 v10, v10, v14
	v_lshlrev_b32_e32 v8, v8, v15
	v_cmp_ne_u32_e32 vcc_lo, v10, v12
	v_lshl_or_b32 v12, v9, 12, v4
	v_cndmask_b32_e64 v10, 0, 1, vcc_lo
	v_cmp_ne_u32_e32 vcc_lo, v8, v13
	v_lshl_or_b32 v13, v11, 12, v6
	v_or_b32_e32 v10, v14, v10
	v_cndmask_b32_e64 v8, 0, 1, vcc_lo
	v_cmp_gt_i32_e32 vcc_lo, 1, v9
	v_or_b32_e32 v8, v15, v8
	v_cndmask_b32_e32 v10, v12, v10, vcc_lo
	v_cmp_gt_i32_e32 vcc_lo, 1, v11
	v_and_b32_e32 v12, 7, v10
	v_cndmask_b32_e32 v8, v13, v8, vcc_lo
	v_cmp_ne_u32_e32 vcc_lo, 0, v4
	v_lshrrev_b32_e32 v10, 2, v10
	v_cmp_eq_u32_e64 s0, 3, v12
	v_and_b32_e32 v13, 7, v8
	v_cndmask_b32_e64 v4, 0, 1, vcc_lo
	v_cmp_ne_u32_e32 vcc_lo, 0, v6
	v_lshrrev_b32_e32 v8, 2, v8
	v_cmp_lt_i32_e64 s1, 5, v13
	v_cmp_eq_u32_e64 s2, 3, v13
	v_cndmask_b32_e64 v6, 0, 1, vcc_lo
	v_cmp_lt_i32_e32 vcc_lo, 5, v12
	v_lshl_or_b32 v4, v4, 9, 0x7c00
	v_lshl_or_b32 v6, v6, 9, 0x7c00
	s_or_b32 vcc_lo, s0, vcc_lo
	v_add_co_ci_u32_e32 v10, vcc_lo, 0, v10, vcc_lo
	s_or_b32 vcc_lo, s2, s1
	v_add_co_ci_u32_e32 v8, vcc_lo, 0, v8, vcc_lo
	v_cmp_gt_i32_e32 vcc_lo, 31, v9
	v_cndmask_b32_e32 v10, 0x7c00, v10, vcc_lo
	v_cmp_gt_i32_e32 vcc_lo, 31, v11
	v_cndmask_b32_e32 v8, 0x7c00, v8, vcc_lo
	v_cmp_eq_u32_e32 vcc_lo, 0x40f, v9
	v_cndmask_b32_e32 v4, v10, v4, vcc_lo
	v_cmp_eq_u32_e32 vcc_lo, 0x40f, v11
	v_and_or_b32 v4, 0x8000, v5, v4
	v_cndmask_b32_e32 v6, v8, v6, vcc_lo
	v_add_co_u32 v2, vcc_lo, v2, s6
	v_add_co_ci_u32_e32 v3, vcc_lo, s3, v3, vcc_lo
	v_and_or_b32 v5, 0x8000, v7, v6
	v_and_b32_e32 v4, 0xffff, v4
	v_lshl_or_b32 v4, v5, 16, v4
	global_store_dword v[2:3], v4, off
	global_load_dword v6, v30, s[12:13] offset:260
	ds_read2_b32 v[4:5], v33 offset0:65 offset1:78
	s_waitcnt lgkmcnt(0)
	v_lshrrev_b32_e32 v7, 16, v4
	s_waitcnt vmcnt(0)
	v_mul_f16_sdwa v8, v7, v6 dst_sel:DWORD dst_unused:UNUSED_PAD src0_sel:DWORD src1_sel:WORD_1
	v_mul_f16_sdwa v9, v4, v6 dst_sel:DWORD dst_unused:UNUSED_PAD src0_sel:DWORD src1_sel:WORD_1
	v_fmac_f16_e32 v8, v4, v6
	v_fma_f16 v4, v6, v7, -v9
	v_cvt_f32_f16_e32 v6, v8
	v_cvt_f32_f16_e32 v4, v4
	v_cvt_f64_f32_e32 v[6:7], v6
	v_cvt_f64_f32_e32 v[8:9], v4
	v_mul_f64 v[6:7], v[6:7], s[8:9]
	v_mul_f64 v[8:9], v[8:9], s[8:9]
	v_and_or_b32 v4, 0x1ff, v7, v6
	v_and_or_b32 v8, 0x1ff, v9, v8
	v_lshrrev_b32_e32 v6, 8, v7
	v_bfe_u32 v10, v7, 20, 11
	v_lshrrev_b32_e32 v11, 8, v9
	v_cmp_ne_u32_e32 vcc_lo, 0, v4
	v_bfe_u32 v12, v9, 20, 11
	v_lshrrev_b32_e32 v7, 16, v7
	v_sub_nc_u32_e32 v13, 0x3f1, v10
	v_add_nc_u32_e32 v10, 0xfffffc10, v10
	v_cndmask_b32_e64 v4, 0, 1, vcc_lo
	v_cmp_ne_u32_e32 vcc_lo, 0, v8
	v_lshrrev_b32_e32 v9, 16, v9
	v_and_or_b32 v4, 0xffe, v6, v4
	v_cndmask_b32_e64 v8, 0, 1, vcc_lo
	v_sub_nc_u32_e32 v6, 0x3f1, v12
	v_add_nc_u32_e32 v12, 0xfffffc10, v12
	v_and_or_b32 v8, 0xffe, v11, v8
	v_med3_i32 v11, v13, 0, 13
	v_or_b32_e32 v13, 0x1000, v4
	v_med3_i32 v6, v6, 0, 13
	v_or_b32_e32 v14, 0x1000, v8
	v_lshrrev_b32_e32 v15, v11, v13
	v_lshrrev_b32_e32 v16, v6, v14
	v_lshlrev_b32_e32 v11, v11, v15
	v_lshlrev_b32_e32 v6, v6, v16
	v_cmp_ne_u32_e32 vcc_lo, v11, v13
	v_lshl_or_b32 v13, v10, 12, v4
	v_cndmask_b32_e64 v11, 0, 1, vcc_lo
	v_cmp_ne_u32_e32 vcc_lo, v6, v14
	v_lshl_or_b32 v14, v12, 12, v8
	v_or_b32_e32 v11, v15, v11
	v_cndmask_b32_e64 v6, 0, 1, vcc_lo
	v_cmp_gt_i32_e32 vcc_lo, 1, v10
	v_or_b32_e32 v6, v16, v6
	v_cndmask_b32_e32 v11, v13, v11, vcc_lo
	v_cmp_gt_i32_e32 vcc_lo, 1, v12
	v_and_b32_e32 v13, 7, v11
	v_cndmask_b32_e32 v6, v14, v6, vcc_lo
	v_cmp_ne_u32_e32 vcc_lo, 0, v4
	v_lshrrev_b32_e32 v11, 2, v11
	v_cmp_eq_u32_e64 s0, 3, v13
	v_and_b32_e32 v14, 7, v6
	v_cndmask_b32_e64 v4, 0, 1, vcc_lo
	v_cmp_ne_u32_e32 vcc_lo, 0, v8
	v_lshrrev_b32_e32 v6, 2, v6
	v_cmp_lt_i32_e64 s1, 5, v14
	v_cmp_eq_u32_e64 s2, 3, v14
	v_cndmask_b32_e64 v8, 0, 1, vcc_lo
	v_cmp_lt_i32_e32 vcc_lo, 5, v13
	v_lshl_or_b32 v4, v4, 9, 0x7c00
	v_lshl_or_b32 v8, v8, 9, 0x7c00
	s_or_b32 vcc_lo, s0, vcc_lo
	v_add_co_ci_u32_e32 v11, vcc_lo, 0, v11, vcc_lo
	s_or_b32 vcc_lo, s2, s1
	v_add_co_ci_u32_e32 v6, vcc_lo, 0, v6, vcc_lo
	v_cmp_gt_i32_e32 vcc_lo, 31, v10
	v_cndmask_b32_e32 v11, 0x7c00, v11, vcc_lo
	v_cmp_gt_i32_e32 vcc_lo, 31, v12
	v_cndmask_b32_e32 v6, 0x7c00, v6, vcc_lo
	v_cmp_eq_u32_e32 vcc_lo, 0x40f, v10
	v_cndmask_b32_e32 v4, v11, v4, vcc_lo
	v_cmp_eq_u32_e32 vcc_lo, 0x40f, v12
	v_and_or_b32 v4, 0x8000, v7, v4
	v_cndmask_b32_e32 v6, v6, v8, vcc_lo
	v_add_co_u32 v2, vcc_lo, v2, s6
	v_add_co_ci_u32_e32 v3, vcc_lo, s3, v3, vcc_lo
	v_and_or_b32 v6, 0x8000, v9, v6
	v_and_b32_e32 v4, 0xffff, v4
	v_lshl_or_b32 v4, v6, 16, v4
	v_lshrrev_b32_e32 v6, 16, v5
	global_store_dword v[2:3], v4, off
	global_load_dword v4, v30, s[12:13] offset:312
	s_waitcnt vmcnt(0)
	v_mul_f16_sdwa v7, v6, v4 dst_sel:DWORD dst_unused:UNUSED_PAD src0_sel:DWORD src1_sel:WORD_1
	v_mul_f16_sdwa v8, v5, v4 dst_sel:DWORD dst_unused:UNUSED_PAD src0_sel:DWORD src1_sel:WORD_1
	v_fmac_f16_e32 v7, v5, v4
	v_fma_f16 v4, v4, v6, -v8
	v_cvt_f32_f16_e32 v5, v7
	v_cvt_f32_f16_e32 v6, v4
	v_cvt_f64_f32_e32 v[4:5], v5
	v_cvt_f64_f32_e32 v[6:7], v6
	v_mul_f64 v[4:5], v[4:5], s[8:9]
	v_mul_f64 v[6:7], v[6:7], s[8:9]
	v_and_or_b32 v4, 0x1ff, v5, v4
	v_and_or_b32 v6, 0x1ff, v7, v6
	v_lshrrev_b32_e32 v8, 8, v5
	v_bfe_u32 v9, v5, 20, 11
	v_lshrrev_b32_e32 v10, 8, v7
	v_cmp_ne_u32_e32 vcc_lo, 0, v4
	v_bfe_u32 v11, v7, 20, 11
	v_lshrrev_b32_e32 v5, 16, v5
	v_sub_nc_u32_e32 v12, 0x3f1, v9
	v_add_nc_u32_e32 v9, 0xfffffc10, v9
	v_cndmask_b32_e64 v4, 0, 1, vcc_lo
	v_cmp_ne_u32_e32 vcc_lo, 0, v6
	v_lshrrev_b32_e32 v7, 16, v7
	v_and_or_b32 v4, 0xffe, v8, v4
	v_cndmask_b32_e64 v6, 0, 1, vcc_lo
	v_sub_nc_u32_e32 v8, 0x3f1, v11
	v_add_nc_u32_e32 v11, 0xfffffc10, v11
	v_and_or_b32 v6, 0xffe, v10, v6
	v_med3_i32 v10, v12, 0, 13
	v_or_b32_e32 v12, 0x1000, v4
	v_med3_i32 v8, v8, 0, 13
	v_or_b32_e32 v13, 0x1000, v6
	v_lshrrev_b32_e32 v14, v10, v12
	v_lshrrev_b32_e32 v15, v8, v13
	v_lshlrev_b32_e32 v10, v10, v14
	v_lshlrev_b32_e32 v8, v8, v15
	v_cmp_ne_u32_e32 vcc_lo, v10, v12
	v_lshl_or_b32 v12, v9, 12, v4
	v_cndmask_b32_e64 v10, 0, 1, vcc_lo
	v_cmp_ne_u32_e32 vcc_lo, v8, v13
	v_lshl_or_b32 v13, v11, 12, v6
	v_or_b32_e32 v10, v14, v10
	v_cndmask_b32_e64 v8, 0, 1, vcc_lo
	v_cmp_gt_i32_e32 vcc_lo, 1, v9
	v_or_b32_e32 v8, v15, v8
	v_cndmask_b32_e32 v10, v12, v10, vcc_lo
	v_cmp_gt_i32_e32 vcc_lo, 1, v11
	v_and_b32_e32 v12, 7, v10
	v_cndmask_b32_e32 v8, v13, v8, vcc_lo
	v_cmp_ne_u32_e32 vcc_lo, 0, v4
	v_lshrrev_b32_e32 v10, 2, v10
	v_cmp_eq_u32_e64 s0, 3, v12
	v_and_b32_e32 v13, 7, v8
	v_cndmask_b32_e64 v4, 0, 1, vcc_lo
	v_cmp_ne_u32_e32 vcc_lo, 0, v6
	v_lshrrev_b32_e32 v8, 2, v8
	v_cmp_lt_i32_e64 s1, 5, v13
	v_cmp_eq_u32_e64 s2, 3, v13
	v_cndmask_b32_e64 v6, 0, 1, vcc_lo
	v_cmp_lt_i32_e32 vcc_lo, 5, v12
	v_lshl_or_b32 v4, v4, 9, 0x7c00
	v_lshl_or_b32 v6, v6, 9, 0x7c00
	s_or_b32 vcc_lo, s0, vcc_lo
	v_add_co_ci_u32_e32 v10, vcc_lo, 0, v10, vcc_lo
	s_or_b32 vcc_lo, s2, s1
	v_add_co_ci_u32_e32 v8, vcc_lo, 0, v8, vcc_lo
	v_cmp_gt_i32_e32 vcc_lo, 31, v9
	v_cndmask_b32_e32 v10, 0x7c00, v10, vcc_lo
	v_cmp_gt_i32_e32 vcc_lo, 31, v11
	v_cndmask_b32_e32 v8, 0x7c00, v8, vcc_lo
	v_cmp_eq_u32_e32 vcc_lo, 0x40f, v9
	v_cndmask_b32_e32 v4, v10, v4, vcc_lo
	v_cmp_eq_u32_e32 vcc_lo, 0x40f, v11
	v_and_or_b32 v4, 0x8000, v5, v4
	v_cndmask_b32_e32 v6, v8, v6, vcc_lo
	v_add_co_u32 v2, vcc_lo, v2, s6
	v_add_co_ci_u32_e32 v3, vcc_lo, s3, v3, vcc_lo
	v_and_or_b32 v5, 0x8000, v7, v6
	v_and_b32_e32 v4, 0xffff, v4
	v_lshl_or_b32 v4, v5, 16, v4
	global_store_dword v[2:3], v4, off
	global_load_dword v6, v30, s[12:13] offset:364
	ds_read2_b32 v[4:5], v33 offset0:91 offset1:104
	s_waitcnt lgkmcnt(0)
	v_lshrrev_b32_e32 v7, 16, v4
	s_waitcnt vmcnt(0)
	v_mul_f16_sdwa v8, v7, v6 dst_sel:DWORD dst_unused:UNUSED_PAD src0_sel:DWORD src1_sel:WORD_1
	v_mul_f16_sdwa v9, v4, v6 dst_sel:DWORD dst_unused:UNUSED_PAD src0_sel:DWORD src1_sel:WORD_1
	v_fmac_f16_e32 v8, v4, v6
	v_fma_f16 v4, v6, v7, -v9
	v_cvt_f32_f16_e32 v6, v8
	v_cvt_f32_f16_e32 v4, v4
	v_cvt_f64_f32_e32 v[6:7], v6
	v_cvt_f64_f32_e32 v[8:9], v4
	v_mul_f64 v[6:7], v[6:7], s[8:9]
	v_mul_f64 v[8:9], v[8:9], s[8:9]
	v_and_or_b32 v4, 0x1ff, v7, v6
	v_and_or_b32 v8, 0x1ff, v9, v8
	v_lshrrev_b32_e32 v6, 8, v7
	v_bfe_u32 v10, v7, 20, 11
	v_lshrrev_b32_e32 v11, 8, v9
	v_cmp_ne_u32_e32 vcc_lo, 0, v4
	v_bfe_u32 v12, v9, 20, 11
	v_lshrrev_b32_e32 v7, 16, v7
	v_sub_nc_u32_e32 v13, 0x3f1, v10
	v_add_nc_u32_e32 v10, 0xfffffc10, v10
	v_cndmask_b32_e64 v4, 0, 1, vcc_lo
	v_cmp_ne_u32_e32 vcc_lo, 0, v8
	v_lshrrev_b32_e32 v9, 16, v9
	v_and_or_b32 v4, 0xffe, v6, v4
	v_cndmask_b32_e64 v8, 0, 1, vcc_lo
	v_sub_nc_u32_e32 v6, 0x3f1, v12
	v_add_nc_u32_e32 v12, 0xfffffc10, v12
	v_and_or_b32 v8, 0xffe, v11, v8
	v_med3_i32 v11, v13, 0, 13
	v_or_b32_e32 v13, 0x1000, v4
	v_med3_i32 v6, v6, 0, 13
	v_or_b32_e32 v14, 0x1000, v8
	v_lshrrev_b32_e32 v15, v11, v13
	v_lshrrev_b32_e32 v16, v6, v14
	v_lshlrev_b32_e32 v11, v11, v15
	v_lshlrev_b32_e32 v6, v6, v16
	v_cmp_ne_u32_e32 vcc_lo, v11, v13
	v_lshl_or_b32 v13, v10, 12, v4
	v_cndmask_b32_e64 v11, 0, 1, vcc_lo
	v_cmp_ne_u32_e32 vcc_lo, v6, v14
	v_lshl_or_b32 v14, v12, 12, v8
	v_or_b32_e32 v11, v15, v11
	v_cndmask_b32_e64 v6, 0, 1, vcc_lo
	v_cmp_gt_i32_e32 vcc_lo, 1, v10
	v_or_b32_e32 v6, v16, v6
	v_cndmask_b32_e32 v11, v13, v11, vcc_lo
	v_cmp_gt_i32_e32 vcc_lo, 1, v12
	v_and_b32_e32 v13, 7, v11
	v_cndmask_b32_e32 v6, v14, v6, vcc_lo
	v_cmp_ne_u32_e32 vcc_lo, 0, v4
	v_lshrrev_b32_e32 v11, 2, v11
	v_cmp_eq_u32_e64 s0, 3, v13
	v_and_b32_e32 v14, 7, v6
	v_cndmask_b32_e64 v4, 0, 1, vcc_lo
	v_cmp_ne_u32_e32 vcc_lo, 0, v8
	v_lshrrev_b32_e32 v6, 2, v6
	v_cmp_lt_i32_e64 s1, 5, v14
	v_cmp_eq_u32_e64 s2, 3, v14
	v_cndmask_b32_e64 v8, 0, 1, vcc_lo
	v_cmp_lt_i32_e32 vcc_lo, 5, v13
	v_lshl_or_b32 v4, v4, 9, 0x7c00
	v_lshl_or_b32 v8, v8, 9, 0x7c00
	s_or_b32 vcc_lo, s0, vcc_lo
	v_add_co_ci_u32_e32 v11, vcc_lo, 0, v11, vcc_lo
	s_or_b32 vcc_lo, s2, s1
	v_add_co_ci_u32_e32 v6, vcc_lo, 0, v6, vcc_lo
	v_cmp_gt_i32_e32 vcc_lo, 31, v10
	v_cndmask_b32_e32 v11, 0x7c00, v11, vcc_lo
	v_cmp_gt_i32_e32 vcc_lo, 31, v12
	v_cndmask_b32_e32 v6, 0x7c00, v6, vcc_lo
	v_cmp_eq_u32_e32 vcc_lo, 0x40f, v10
	v_cndmask_b32_e32 v4, v11, v4, vcc_lo
	v_cmp_eq_u32_e32 vcc_lo, 0x40f, v12
	v_and_or_b32 v4, 0x8000, v7, v4
	v_cndmask_b32_e32 v6, v6, v8, vcc_lo
	v_add_co_u32 v2, vcc_lo, v2, s6
	v_add_co_ci_u32_e32 v3, vcc_lo, s3, v3, vcc_lo
	v_and_or_b32 v6, 0x8000, v9, v6
	v_and_b32_e32 v4, 0xffff, v4
	v_lshl_or_b32 v4, v6, 16, v4
	v_lshrrev_b32_e32 v6, 16, v5
	global_store_dword v[2:3], v4, off
	global_load_dword v4, v30, s[12:13] offset:416
	s_waitcnt vmcnt(0)
	v_mul_f16_sdwa v7, v6, v4 dst_sel:DWORD dst_unused:UNUSED_PAD src0_sel:DWORD src1_sel:WORD_1
	v_mul_f16_sdwa v8, v5, v4 dst_sel:DWORD dst_unused:UNUSED_PAD src0_sel:DWORD src1_sel:WORD_1
	v_fmac_f16_e32 v7, v5, v4
	v_fma_f16 v4, v4, v6, -v8
	v_cvt_f32_f16_e32 v5, v7
	v_cvt_f32_f16_e32 v6, v4
	v_cvt_f64_f32_e32 v[4:5], v5
	v_cvt_f64_f32_e32 v[6:7], v6
	v_mul_f64 v[4:5], v[4:5], s[8:9]
	v_mul_f64 v[6:7], v[6:7], s[8:9]
	v_and_or_b32 v4, 0x1ff, v5, v4
	v_and_or_b32 v6, 0x1ff, v7, v6
	v_lshrrev_b32_e32 v8, 8, v5
	v_bfe_u32 v9, v5, 20, 11
	v_lshrrev_b32_e32 v10, 8, v7
	v_cmp_ne_u32_e32 vcc_lo, 0, v4
	v_bfe_u32 v11, v7, 20, 11
	v_lshrrev_b32_e32 v5, 16, v5
	v_sub_nc_u32_e32 v12, 0x3f1, v9
	v_add_nc_u32_e32 v9, 0xfffffc10, v9
	v_cndmask_b32_e64 v4, 0, 1, vcc_lo
	v_cmp_ne_u32_e32 vcc_lo, 0, v6
	v_lshrrev_b32_e32 v7, 16, v7
	v_and_or_b32 v4, 0xffe, v8, v4
	v_cndmask_b32_e64 v6, 0, 1, vcc_lo
	v_sub_nc_u32_e32 v8, 0x3f1, v11
	v_add_nc_u32_e32 v11, 0xfffffc10, v11
	v_and_or_b32 v6, 0xffe, v10, v6
	v_med3_i32 v10, v12, 0, 13
	v_or_b32_e32 v12, 0x1000, v4
	v_med3_i32 v8, v8, 0, 13
	v_or_b32_e32 v13, 0x1000, v6
	v_lshrrev_b32_e32 v14, v10, v12
	v_lshrrev_b32_e32 v15, v8, v13
	v_lshlrev_b32_e32 v10, v10, v14
	v_lshlrev_b32_e32 v8, v8, v15
	v_cmp_ne_u32_e32 vcc_lo, v10, v12
	v_lshl_or_b32 v12, v9, 12, v4
	v_cndmask_b32_e64 v10, 0, 1, vcc_lo
	v_cmp_ne_u32_e32 vcc_lo, v8, v13
	v_lshl_or_b32 v13, v11, 12, v6
	v_or_b32_e32 v10, v14, v10
	v_cndmask_b32_e64 v8, 0, 1, vcc_lo
	v_cmp_gt_i32_e32 vcc_lo, 1, v9
	v_or_b32_e32 v8, v15, v8
	v_cndmask_b32_e32 v10, v12, v10, vcc_lo
	v_cmp_gt_i32_e32 vcc_lo, 1, v11
	v_and_b32_e32 v12, 7, v10
	v_cndmask_b32_e32 v8, v13, v8, vcc_lo
	v_cmp_ne_u32_e32 vcc_lo, 0, v4
	v_lshrrev_b32_e32 v10, 2, v10
	v_cmp_eq_u32_e64 s0, 3, v12
	v_and_b32_e32 v13, 7, v8
	v_cndmask_b32_e64 v4, 0, 1, vcc_lo
	v_cmp_ne_u32_e32 vcc_lo, 0, v6
	v_lshrrev_b32_e32 v8, 2, v8
	v_cmp_lt_i32_e64 s1, 5, v13
	v_cmp_eq_u32_e64 s2, 3, v13
	v_cndmask_b32_e64 v6, 0, 1, vcc_lo
	v_cmp_lt_i32_e32 vcc_lo, 5, v12
	v_lshl_or_b32 v4, v4, 9, 0x7c00
	v_lshl_or_b32 v6, v6, 9, 0x7c00
	s_or_b32 vcc_lo, s0, vcc_lo
	v_add_co_ci_u32_e32 v10, vcc_lo, 0, v10, vcc_lo
	s_or_b32 vcc_lo, s2, s1
	v_add_co_ci_u32_e32 v8, vcc_lo, 0, v8, vcc_lo
	v_cmp_gt_i32_e32 vcc_lo, 31, v9
	v_cndmask_b32_e32 v10, 0x7c00, v10, vcc_lo
	v_cmp_gt_i32_e32 vcc_lo, 31, v11
	v_cndmask_b32_e32 v8, 0x7c00, v8, vcc_lo
	v_cmp_eq_u32_e32 vcc_lo, 0x40f, v9
	v_cndmask_b32_e32 v4, v10, v4, vcc_lo
	v_cmp_eq_u32_e32 vcc_lo, 0x40f, v11
	v_and_or_b32 v4, 0x8000, v5, v4
	v_cndmask_b32_e32 v6, v8, v6, vcc_lo
	v_add_co_u32 v2, vcc_lo, v2, s6
	v_add_co_ci_u32_e32 v3, vcc_lo, s3, v3, vcc_lo
	v_and_or_b32 v5, 0x8000, v7, v6
	v_and_b32_e32 v4, 0xffff, v4
	v_lshl_or_b32 v4, v5, 16, v4
	global_store_dword v[2:3], v4, off
	global_load_dword v6, v30, s[12:13] offset:468
	ds_read2_b32 v[4:5], v33 offset0:117 offset1:130
	s_waitcnt lgkmcnt(0)
	v_lshrrev_b32_e32 v7, 16, v4
	s_waitcnt vmcnt(0)
	v_mul_f16_sdwa v8, v7, v6 dst_sel:DWORD dst_unused:UNUSED_PAD src0_sel:DWORD src1_sel:WORD_1
	v_mul_f16_sdwa v9, v4, v6 dst_sel:DWORD dst_unused:UNUSED_PAD src0_sel:DWORD src1_sel:WORD_1
	v_fmac_f16_e32 v8, v4, v6
	v_fma_f16 v4, v6, v7, -v9
	v_cvt_f32_f16_e32 v6, v8
	v_cvt_f32_f16_e32 v4, v4
	v_cvt_f64_f32_e32 v[6:7], v6
	v_cvt_f64_f32_e32 v[8:9], v4
	v_mul_f64 v[6:7], v[6:7], s[8:9]
	v_mul_f64 v[8:9], v[8:9], s[8:9]
	v_and_or_b32 v4, 0x1ff, v7, v6
	v_and_or_b32 v8, 0x1ff, v9, v8
	v_lshrrev_b32_e32 v6, 8, v7
	v_bfe_u32 v10, v7, 20, 11
	v_lshrrev_b32_e32 v11, 8, v9
	v_cmp_ne_u32_e32 vcc_lo, 0, v4
	v_bfe_u32 v12, v9, 20, 11
	v_lshrrev_b32_e32 v7, 16, v7
	v_sub_nc_u32_e32 v13, 0x3f1, v10
	v_add_nc_u32_e32 v10, 0xfffffc10, v10
	v_cndmask_b32_e64 v4, 0, 1, vcc_lo
	v_cmp_ne_u32_e32 vcc_lo, 0, v8
	v_lshrrev_b32_e32 v9, 16, v9
	v_and_or_b32 v4, 0xffe, v6, v4
	v_cndmask_b32_e64 v8, 0, 1, vcc_lo
	v_sub_nc_u32_e32 v6, 0x3f1, v12
	v_add_nc_u32_e32 v12, 0xfffffc10, v12
	v_and_or_b32 v8, 0xffe, v11, v8
	v_med3_i32 v11, v13, 0, 13
	v_or_b32_e32 v13, 0x1000, v4
	v_med3_i32 v6, v6, 0, 13
	v_or_b32_e32 v14, 0x1000, v8
	v_lshrrev_b32_e32 v15, v11, v13
	v_lshrrev_b32_e32 v16, v6, v14
	v_lshlrev_b32_e32 v11, v11, v15
	v_lshlrev_b32_e32 v6, v6, v16
	v_cmp_ne_u32_e32 vcc_lo, v11, v13
	v_lshl_or_b32 v13, v10, 12, v4
	v_cndmask_b32_e64 v11, 0, 1, vcc_lo
	v_cmp_ne_u32_e32 vcc_lo, v6, v14
	v_lshl_or_b32 v14, v12, 12, v8
	v_or_b32_e32 v11, v15, v11
	v_cndmask_b32_e64 v6, 0, 1, vcc_lo
	v_cmp_gt_i32_e32 vcc_lo, 1, v10
	v_or_b32_e32 v6, v16, v6
	v_cndmask_b32_e32 v11, v13, v11, vcc_lo
	v_cmp_gt_i32_e32 vcc_lo, 1, v12
	v_and_b32_e32 v13, 7, v11
	v_cndmask_b32_e32 v6, v14, v6, vcc_lo
	v_cmp_ne_u32_e32 vcc_lo, 0, v4
	v_lshrrev_b32_e32 v11, 2, v11
	v_cmp_eq_u32_e64 s0, 3, v13
	v_and_b32_e32 v14, 7, v6
	v_cndmask_b32_e64 v4, 0, 1, vcc_lo
	v_cmp_ne_u32_e32 vcc_lo, 0, v8
	v_lshrrev_b32_e32 v6, 2, v6
	v_cmp_lt_i32_e64 s1, 5, v14
	v_cmp_eq_u32_e64 s2, 3, v14
	v_cndmask_b32_e64 v8, 0, 1, vcc_lo
	v_cmp_lt_i32_e32 vcc_lo, 5, v13
	v_lshl_or_b32 v4, v4, 9, 0x7c00
	v_lshl_or_b32 v8, v8, 9, 0x7c00
	s_or_b32 vcc_lo, s0, vcc_lo
	v_add_co_ci_u32_e32 v11, vcc_lo, 0, v11, vcc_lo
	s_or_b32 vcc_lo, s2, s1
	v_add_co_ci_u32_e32 v6, vcc_lo, 0, v6, vcc_lo
	v_cmp_gt_i32_e32 vcc_lo, 31, v10
	v_cndmask_b32_e32 v11, 0x7c00, v11, vcc_lo
	v_cmp_gt_i32_e32 vcc_lo, 31, v12
	v_cndmask_b32_e32 v6, 0x7c00, v6, vcc_lo
	v_cmp_eq_u32_e32 vcc_lo, 0x40f, v10
	v_cndmask_b32_e32 v4, v11, v4, vcc_lo
	v_cmp_eq_u32_e32 vcc_lo, 0x40f, v12
	v_and_or_b32 v4, 0x8000, v7, v4
	v_cndmask_b32_e32 v6, v6, v8, vcc_lo
	v_add_co_u32 v2, vcc_lo, v2, s6
	v_add_co_ci_u32_e32 v3, vcc_lo, s3, v3, vcc_lo
	v_and_or_b32 v6, 0x8000, v9, v6
	v_and_b32_e32 v4, 0xffff, v4
	v_lshl_or_b32 v4, v6, 16, v4
	v_lshrrev_b32_e32 v6, 16, v5
	global_store_dword v[2:3], v4, off
	global_load_dword v4, v30, s[12:13] offset:520
	s_waitcnt vmcnt(0)
	v_mul_f16_sdwa v7, v6, v4 dst_sel:DWORD dst_unused:UNUSED_PAD src0_sel:DWORD src1_sel:WORD_1
	v_mul_f16_sdwa v8, v5, v4 dst_sel:DWORD dst_unused:UNUSED_PAD src0_sel:DWORD src1_sel:WORD_1
	v_fmac_f16_e32 v7, v5, v4
	v_fma_f16 v4, v4, v6, -v8
	v_cvt_f32_f16_e32 v5, v7
	v_cvt_f32_f16_e32 v6, v4
	v_cvt_f64_f32_e32 v[4:5], v5
	v_cvt_f64_f32_e32 v[6:7], v6
	v_mul_f64 v[4:5], v[4:5], s[8:9]
	v_mul_f64 v[6:7], v[6:7], s[8:9]
	v_and_or_b32 v4, 0x1ff, v5, v4
	v_and_or_b32 v6, 0x1ff, v7, v6
	v_lshrrev_b32_e32 v8, 8, v5
	v_bfe_u32 v9, v5, 20, 11
	v_lshrrev_b32_e32 v10, 8, v7
	v_cmp_ne_u32_e32 vcc_lo, 0, v4
	v_bfe_u32 v11, v7, 20, 11
	v_lshrrev_b32_e32 v5, 16, v5
	v_sub_nc_u32_e32 v12, 0x3f1, v9
	v_add_nc_u32_e32 v9, 0xfffffc10, v9
	v_cndmask_b32_e64 v4, 0, 1, vcc_lo
	v_cmp_ne_u32_e32 vcc_lo, 0, v6
	v_lshrrev_b32_e32 v7, 16, v7
	v_and_or_b32 v4, 0xffe, v8, v4
	v_cndmask_b32_e64 v6, 0, 1, vcc_lo
	v_sub_nc_u32_e32 v8, 0x3f1, v11
	v_add_nc_u32_e32 v11, 0xfffffc10, v11
	v_and_or_b32 v6, 0xffe, v10, v6
	v_med3_i32 v10, v12, 0, 13
	v_or_b32_e32 v12, 0x1000, v4
	v_med3_i32 v8, v8, 0, 13
	v_or_b32_e32 v13, 0x1000, v6
	v_lshrrev_b32_e32 v14, v10, v12
	v_lshrrev_b32_e32 v15, v8, v13
	v_lshlrev_b32_e32 v10, v10, v14
	v_lshlrev_b32_e32 v8, v8, v15
	v_cmp_ne_u32_e32 vcc_lo, v10, v12
	v_lshl_or_b32 v12, v9, 12, v4
	v_cndmask_b32_e64 v10, 0, 1, vcc_lo
	v_cmp_ne_u32_e32 vcc_lo, v8, v13
	v_lshl_or_b32 v13, v11, 12, v6
	v_or_b32_e32 v10, v14, v10
	v_cndmask_b32_e64 v8, 0, 1, vcc_lo
	v_cmp_gt_i32_e32 vcc_lo, 1, v9
	v_or_b32_e32 v8, v15, v8
	v_cndmask_b32_e32 v10, v12, v10, vcc_lo
	v_cmp_gt_i32_e32 vcc_lo, 1, v11
	v_and_b32_e32 v12, 7, v10
	v_cndmask_b32_e32 v8, v13, v8, vcc_lo
	v_cmp_ne_u32_e32 vcc_lo, 0, v4
	v_lshrrev_b32_e32 v10, 2, v10
	v_cmp_eq_u32_e64 s0, 3, v12
	v_and_b32_e32 v13, 7, v8
	v_cndmask_b32_e64 v4, 0, 1, vcc_lo
	v_cmp_ne_u32_e32 vcc_lo, 0, v6
	v_lshrrev_b32_e32 v8, 2, v8
	v_cmp_lt_i32_e64 s1, 5, v13
	v_cmp_eq_u32_e64 s2, 3, v13
	v_cndmask_b32_e64 v6, 0, 1, vcc_lo
	v_cmp_lt_i32_e32 vcc_lo, 5, v12
	v_lshl_or_b32 v4, v4, 9, 0x7c00
	v_lshl_or_b32 v6, v6, 9, 0x7c00
	s_or_b32 vcc_lo, s0, vcc_lo
	v_add_co_ci_u32_e32 v10, vcc_lo, 0, v10, vcc_lo
	s_or_b32 vcc_lo, s2, s1
	v_add_co_ci_u32_e32 v8, vcc_lo, 0, v8, vcc_lo
	v_cmp_gt_i32_e32 vcc_lo, 31, v9
	v_cndmask_b32_e32 v10, 0x7c00, v10, vcc_lo
	v_cmp_gt_i32_e32 vcc_lo, 31, v11
	v_cndmask_b32_e32 v8, 0x7c00, v8, vcc_lo
	v_cmp_eq_u32_e32 vcc_lo, 0x40f, v9
	v_cndmask_b32_e32 v4, v10, v4, vcc_lo
	v_cmp_eq_u32_e32 vcc_lo, 0x40f, v11
	v_and_or_b32 v4, 0x8000, v5, v4
	v_cndmask_b32_e32 v6, v8, v6, vcc_lo
	v_add_co_u32 v2, vcc_lo, v2, s6
	v_add_co_ci_u32_e32 v3, vcc_lo, s3, v3, vcc_lo
	v_and_or_b32 v5, 0x8000, v7, v6
	v_and_b32_e32 v4, 0xffff, v4
	v_lshl_or_b32 v4, v5, 16, v4
	global_store_dword v[2:3], v4, off
	global_load_dword v6, v30, s[12:13] offset:572
	ds_read2_b32 v[4:5], v33 offset0:143 offset1:156
	s_waitcnt lgkmcnt(0)
	v_lshrrev_b32_e32 v7, 16, v4
	s_waitcnt vmcnt(0)
	v_mul_f16_sdwa v8, v7, v6 dst_sel:DWORD dst_unused:UNUSED_PAD src0_sel:DWORD src1_sel:WORD_1
	v_mul_f16_sdwa v9, v4, v6 dst_sel:DWORD dst_unused:UNUSED_PAD src0_sel:DWORD src1_sel:WORD_1
	v_fmac_f16_e32 v8, v4, v6
	v_fma_f16 v4, v6, v7, -v9
	v_cvt_f32_f16_e32 v6, v8
	v_cvt_f32_f16_e32 v4, v4
	v_cvt_f64_f32_e32 v[6:7], v6
	v_cvt_f64_f32_e32 v[8:9], v4
	v_mul_f64 v[6:7], v[6:7], s[8:9]
	v_mul_f64 v[8:9], v[8:9], s[8:9]
	v_and_or_b32 v4, 0x1ff, v7, v6
	v_and_or_b32 v8, 0x1ff, v9, v8
	v_lshrrev_b32_e32 v6, 8, v7
	v_bfe_u32 v10, v7, 20, 11
	v_lshrrev_b32_e32 v11, 8, v9
	v_cmp_ne_u32_e32 vcc_lo, 0, v4
	v_bfe_u32 v12, v9, 20, 11
	v_lshrrev_b32_e32 v7, 16, v7
	v_sub_nc_u32_e32 v13, 0x3f1, v10
	v_add_nc_u32_e32 v10, 0xfffffc10, v10
	v_cndmask_b32_e64 v4, 0, 1, vcc_lo
	v_cmp_ne_u32_e32 vcc_lo, 0, v8
	v_lshrrev_b32_e32 v9, 16, v9
	v_and_or_b32 v4, 0xffe, v6, v4
	v_cndmask_b32_e64 v8, 0, 1, vcc_lo
	v_sub_nc_u32_e32 v6, 0x3f1, v12
	v_add_nc_u32_e32 v12, 0xfffffc10, v12
	v_and_or_b32 v8, 0xffe, v11, v8
	v_med3_i32 v11, v13, 0, 13
	v_or_b32_e32 v13, 0x1000, v4
	v_med3_i32 v6, v6, 0, 13
	v_or_b32_e32 v14, 0x1000, v8
	v_lshrrev_b32_e32 v15, v11, v13
	v_lshrrev_b32_e32 v16, v6, v14
	v_lshlrev_b32_e32 v11, v11, v15
	v_lshlrev_b32_e32 v6, v6, v16
	v_cmp_ne_u32_e32 vcc_lo, v11, v13
	v_lshl_or_b32 v13, v10, 12, v4
	v_cndmask_b32_e64 v11, 0, 1, vcc_lo
	v_cmp_ne_u32_e32 vcc_lo, v6, v14
	v_lshl_or_b32 v14, v12, 12, v8
	v_or_b32_e32 v11, v15, v11
	v_cndmask_b32_e64 v6, 0, 1, vcc_lo
	v_cmp_gt_i32_e32 vcc_lo, 1, v10
	v_or_b32_e32 v6, v16, v6
	v_cndmask_b32_e32 v11, v13, v11, vcc_lo
	v_cmp_gt_i32_e32 vcc_lo, 1, v12
	v_and_b32_e32 v13, 7, v11
	v_cndmask_b32_e32 v6, v14, v6, vcc_lo
	v_cmp_ne_u32_e32 vcc_lo, 0, v4
	v_lshrrev_b32_e32 v11, 2, v11
	v_cmp_eq_u32_e64 s0, 3, v13
	v_and_b32_e32 v14, 7, v6
	v_cndmask_b32_e64 v4, 0, 1, vcc_lo
	v_cmp_ne_u32_e32 vcc_lo, 0, v8
	v_lshrrev_b32_e32 v6, 2, v6
	v_cmp_lt_i32_e64 s1, 5, v14
	v_cmp_eq_u32_e64 s2, 3, v14
	v_cndmask_b32_e64 v8, 0, 1, vcc_lo
	v_cmp_lt_i32_e32 vcc_lo, 5, v13
	v_lshl_or_b32 v4, v4, 9, 0x7c00
	v_lshl_or_b32 v8, v8, 9, 0x7c00
	s_or_b32 vcc_lo, s0, vcc_lo
	v_add_co_ci_u32_e32 v11, vcc_lo, 0, v11, vcc_lo
	s_or_b32 vcc_lo, s2, s1
	v_add_co_ci_u32_e32 v6, vcc_lo, 0, v6, vcc_lo
	v_cmp_gt_i32_e32 vcc_lo, 31, v10
	v_cndmask_b32_e32 v11, 0x7c00, v11, vcc_lo
	v_cmp_gt_i32_e32 vcc_lo, 31, v12
	v_cndmask_b32_e32 v6, 0x7c00, v6, vcc_lo
	v_cmp_eq_u32_e32 vcc_lo, 0x40f, v10
	v_cndmask_b32_e32 v4, v11, v4, vcc_lo
	v_cmp_eq_u32_e32 vcc_lo, 0x40f, v12
	v_and_or_b32 v4, 0x8000, v7, v4
	v_cndmask_b32_e32 v6, v6, v8, vcc_lo
	v_add_co_u32 v2, vcc_lo, v2, s6
	v_add_co_ci_u32_e32 v3, vcc_lo, s3, v3, vcc_lo
	v_and_or_b32 v6, 0x8000, v9, v6
	v_and_b32_e32 v4, 0xffff, v4
	v_lshl_or_b32 v4, v6, 16, v4
	v_lshrrev_b32_e32 v6, 16, v5
	global_store_dword v[2:3], v4, off
	global_load_dword v4, v30, s[12:13] offset:624
	s_waitcnt vmcnt(0)
	v_mul_f16_sdwa v7, v6, v4 dst_sel:DWORD dst_unused:UNUSED_PAD src0_sel:DWORD src1_sel:WORD_1
	v_mul_f16_sdwa v8, v5, v4 dst_sel:DWORD dst_unused:UNUSED_PAD src0_sel:DWORD src1_sel:WORD_1
	v_fmac_f16_e32 v7, v5, v4
	v_fma_f16 v4, v4, v6, -v8
	v_cvt_f32_f16_e32 v5, v7
	v_cvt_f32_f16_e32 v6, v4
	v_cvt_f64_f32_e32 v[4:5], v5
	v_cvt_f64_f32_e32 v[6:7], v6
	v_mul_f64 v[4:5], v[4:5], s[8:9]
	v_mul_f64 v[6:7], v[6:7], s[8:9]
	v_and_or_b32 v4, 0x1ff, v5, v4
	v_and_or_b32 v6, 0x1ff, v7, v6
	v_lshrrev_b32_e32 v8, 8, v5
	v_bfe_u32 v9, v5, 20, 11
	v_lshrrev_b32_e32 v10, 8, v7
	v_cmp_ne_u32_e32 vcc_lo, 0, v4
	v_bfe_u32 v11, v7, 20, 11
	v_lshrrev_b32_e32 v5, 16, v5
	v_sub_nc_u32_e32 v12, 0x3f1, v9
	v_add_nc_u32_e32 v9, 0xfffffc10, v9
	v_cndmask_b32_e64 v4, 0, 1, vcc_lo
	v_cmp_ne_u32_e32 vcc_lo, 0, v6
	v_lshrrev_b32_e32 v7, 16, v7
	v_and_or_b32 v4, 0xffe, v8, v4
	v_cndmask_b32_e64 v6, 0, 1, vcc_lo
	v_sub_nc_u32_e32 v8, 0x3f1, v11
	v_add_nc_u32_e32 v11, 0xfffffc10, v11
	v_and_or_b32 v6, 0xffe, v10, v6
	v_med3_i32 v10, v12, 0, 13
	v_or_b32_e32 v12, 0x1000, v4
	v_med3_i32 v8, v8, 0, 13
	v_or_b32_e32 v13, 0x1000, v6
	v_lshrrev_b32_e32 v14, v10, v12
	v_lshrrev_b32_e32 v15, v8, v13
	v_lshlrev_b32_e32 v10, v10, v14
	v_lshlrev_b32_e32 v8, v8, v15
	v_cmp_ne_u32_e32 vcc_lo, v10, v12
	v_lshl_or_b32 v12, v9, 12, v4
	v_cndmask_b32_e64 v10, 0, 1, vcc_lo
	v_cmp_ne_u32_e32 vcc_lo, v8, v13
	v_lshl_or_b32 v13, v11, 12, v6
	v_or_b32_e32 v10, v14, v10
	v_cndmask_b32_e64 v8, 0, 1, vcc_lo
	v_cmp_gt_i32_e32 vcc_lo, 1, v9
	v_or_b32_e32 v8, v15, v8
	v_cndmask_b32_e32 v10, v12, v10, vcc_lo
	v_cmp_gt_i32_e32 vcc_lo, 1, v11
	v_and_b32_e32 v12, 7, v10
	v_cndmask_b32_e32 v8, v13, v8, vcc_lo
	v_cmp_ne_u32_e32 vcc_lo, 0, v4
	v_lshrrev_b32_e32 v10, 2, v10
	v_cmp_eq_u32_e64 s0, 3, v12
	v_and_b32_e32 v13, 7, v8
	v_cndmask_b32_e64 v4, 0, 1, vcc_lo
	v_cmp_ne_u32_e32 vcc_lo, 0, v6
	v_lshrrev_b32_e32 v8, 2, v8
	v_cmp_lt_i32_e64 s1, 5, v13
	v_cmp_eq_u32_e64 s2, 3, v13
	v_cndmask_b32_e64 v6, 0, 1, vcc_lo
	v_cmp_lt_i32_e32 vcc_lo, 5, v12
	v_lshl_or_b32 v4, v4, 9, 0x7c00
	v_lshl_or_b32 v6, v6, 9, 0x7c00
	s_or_b32 vcc_lo, s0, vcc_lo
	v_add_co_ci_u32_e32 v10, vcc_lo, 0, v10, vcc_lo
	s_or_b32 vcc_lo, s2, s1
	v_add_co_ci_u32_e32 v8, vcc_lo, 0, v8, vcc_lo
	v_cmp_gt_i32_e32 vcc_lo, 31, v9
	v_cndmask_b32_e32 v10, 0x7c00, v10, vcc_lo
	v_cmp_gt_i32_e32 vcc_lo, 31, v11
	v_cndmask_b32_e32 v8, 0x7c00, v8, vcc_lo
	v_cmp_eq_u32_e32 vcc_lo, 0x40f, v9
	v_cndmask_b32_e32 v4, v10, v4, vcc_lo
	v_cmp_eq_u32_e32 vcc_lo, 0x40f, v11
	v_and_or_b32 v4, 0x8000, v5, v4
	v_cndmask_b32_e32 v6, v8, v6, vcc_lo
	v_add_co_u32 v2, vcc_lo, v2, s6
	v_add_co_ci_u32_e32 v3, vcc_lo, s3, v3, vcc_lo
	v_and_or_b32 v5, 0x8000, v7, v6
	v_and_b32_e32 v4, 0xffff, v4
	v_lshl_or_b32 v4, v5, 16, v4
	global_store_dword v[2:3], v4, off
	global_load_dword v6, v30, s[12:13] offset:676
	ds_read2_b32 v[4:5], v33 offset0:169 offset1:182
	s_waitcnt lgkmcnt(0)
	v_lshrrev_b32_e32 v7, 16, v4
	s_waitcnt vmcnt(0)
	v_mul_f16_sdwa v8, v7, v6 dst_sel:DWORD dst_unused:UNUSED_PAD src0_sel:DWORD src1_sel:WORD_1
	v_mul_f16_sdwa v9, v4, v6 dst_sel:DWORD dst_unused:UNUSED_PAD src0_sel:DWORD src1_sel:WORD_1
	v_fmac_f16_e32 v8, v4, v6
	v_fma_f16 v4, v6, v7, -v9
	v_cvt_f32_f16_e32 v6, v8
	v_cvt_f32_f16_e32 v4, v4
	v_cvt_f64_f32_e32 v[6:7], v6
	v_cvt_f64_f32_e32 v[8:9], v4
	v_mul_f64 v[6:7], v[6:7], s[8:9]
	v_mul_f64 v[8:9], v[8:9], s[8:9]
	v_and_or_b32 v4, 0x1ff, v7, v6
	v_and_or_b32 v8, 0x1ff, v9, v8
	v_lshrrev_b32_e32 v6, 8, v7
	v_bfe_u32 v10, v7, 20, 11
	v_lshrrev_b32_e32 v11, 8, v9
	v_cmp_ne_u32_e32 vcc_lo, 0, v4
	v_bfe_u32 v12, v9, 20, 11
	v_lshrrev_b32_e32 v7, 16, v7
	v_sub_nc_u32_e32 v13, 0x3f1, v10
	v_add_nc_u32_e32 v10, 0xfffffc10, v10
	v_cndmask_b32_e64 v4, 0, 1, vcc_lo
	v_cmp_ne_u32_e32 vcc_lo, 0, v8
	v_lshrrev_b32_e32 v9, 16, v9
	v_and_or_b32 v4, 0xffe, v6, v4
	v_cndmask_b32_e64 v8, 0, 1, vcc_lo
	v_sub_nc_u32_e32 v6, 0x3f1, v12
	v_add_nc_u32_e32 v12, 0xfffffc10, v12
	v_and_or_b32 v8, 0xffe, v11, v8
	v_med3_i32 v11, v13, 0, 13
	v_or_b32_e32 v13, 0x1000, v4
	v_med3_i32 v6, v6, 0, 13
	v_or_b32_e32 v14, 0x1000, v8
	v_lshrrev_b32_e32 v15, v11, v13
	v_lshrrev_b32_e32 v16, v6, v14
	v_lshlrev_b32_e32 v11, v11, v15
	v_lshlrev_b32_e32 v6, v6, v16
	v_cmp_ne_u32_e32 vcc_lo, v11, v13
	v_lshl_or_b32 v13, v10, 12, v4
	v_cndmask_b32_e64 v11, 0, 1, vcc_lo
	v_cmp_ne_u32_e32 vcc_lo, v6, v14
	v_lshl_or_b32 v14, v12, 12, v8
	v_or_b32_e32 v11, v15, v11
	v_cndmask_b32_e64 v6, 0, 1, vcc_lo
	v_cmp_gt_i32_e32 vcc_lo, 1, v10
	v_or_b32_e32 v6, v16, v6
	v_cndmask_b32_e32 v11, v13, v11, vcc_lo
	v_cmp_gt_i32_e32 vcc_lo, 1, v12
	v_and_b32_e32 v13, 7, v11
	v_cndmask_b32_e32 v6, v14, v6, vcc_lo
	v_cmp_ne_u32_e32 vcc_lo, 0, v4
	v_lshrrev_b32_e32 v11, 2, v11
	v_cmp_eq_u32_e64 s0, 3, v13
	v_and_b32_e32 v14, 7, v6
	v_cndmask_b32_e64 v4, 0, 1, vcc_lo
	v_cmp_ne_u32_e32 vcc_lo, 0, v8
	v_lshrrev_b32_e32 v6, 2, v6
	v_cmp_lt_i32_e64 s1, 5, v14
	v_cmp_eq_u32_e64 s2, 3, v14
	v_cndmask_b32_e64 v8, 0, 1, vcc_lo
	v_cmp_lt_i32_e32 vcc_lo, 5, v13
	v_lshl_or_b32 v4, v4, 9, 0x7c00
	v_lshl_or_b32 v8, v8, 9, 0x7c00
	s_or_b32 vcc_lo, s0, vcc_lo
	v_add_co_ci_u32_e32 v11, vcc_lo, 0, v11, vcc_lo
	s_or_b32 vcc_lo, s2, s1
	v_add_co_ci_u32_e32 v6, vcc_lo, 0, v6, vcc_lo
	v_cmp_gt_i32_e32 vcc_lo, 31, v10
	v_cndmask_b32_e32 v11, 0x7c00, v11, vcc_lo
	v_cmp_gt_i32_e32 vcc_lo, 31, v12
	v_cndmask_b32_e32 v6, 0x7c00, v6, vcc_lo
	v_cmp_eq_u32_e32 vcc_lo, 0x40f, v10
	v_cndmask_b32_e32 v4, v11, v4, vcc_lo
	v_cmp_eq_u32_e32 vcc_lo, 0x40f, v12
	v_and_or_b32 v4, 0x8000, v7, v4
	v_cndmask_b32_e32 v6, v6, v8, vcc_lo
	v_add_co_u32 v2, vcc_lo, v2, s6
	v_add_co_ci_u32_e32 v3, vcc_lo, s3, v3, vcc_lo
	v_and_or_b32 v6, 0x8000, v9, v6
	v_and_b32_e32 v4, 0xffff, v4
	v_lshl_or_b32 v4, v6, 16, v4
	v_lshrrev_b32_e32 v6, 16, v5
	global_store_dword v[2:3], v4, off
	global_load_dword v4, v30, s[12:13] offset:728
	s_waitcnt vmcnt(0)
	v_mul_f16_sdwa v7, v6, v4 dst_sel:DWORD dst_unused:UNUSED_PAD src0_sel:DWORD src1_sel:WORD_1
	v_mul_f16_sdwa v8, v5, v4 dst_sel:DWORD dst_unused:UNUSED_PAD src0_sel:DWORD src1_sel:WORD_1
	v_fmac_f16_e32 v7, v5, v4
	v_fma_f16 v4, v4, v6, -v8
	v_cvt_f32_f16_e32 v5, v7
	v_cvt_f32_f16_e32 v6, v4
	v_cvt_f64_f32_e32 v[4:5], v5
	v_cvt_f64_f32_e32 v[6:7], v6
	v_mul_f64 v[4:5], v[4:5], s[8:9]
	v_mul_f64 v[6:7], v[6:7], s[8:9]
	v_and_or_b32 v4, 0x1ff, v5, v4
	v_and_or_b32 v6, 0x1ff, v7, v6
	v_lshrrev_b32_e32 v8, 8, v5
	v_bfe_u32 v9, v5, 20, 11
	v_lshrrev_b32_e32 v10, 8, v7
	v_cmp_ne_u32_e32 vcc_lo, 0, v4
	v_bfe_u32 v11, v7, 20, 11
	v_lshrrev_b32_e32 v5, 16, v5
	v_sub_nc_u32_e32 v12, 0x3f1, v9
	v_add_nc_u32_e32 v9, 0xfffffc10, v9
	v_cndmask_b32_e64 v4, 0, 1, vcc_lo
	v_cmp_ne_u32_e32 vcc_lo, 0, v6
	v_lshrrev_b32_e32 v7, 16, v7
	v_and_or_b32 v4, 0xffe, v8, v4
	v_cndmask_b32_e64 v6, 0, 1, vcc_lo
	v_sub_nc_u32_e32 v8, 0x3f1, v11
	v_add_nc_u32_e32 v11, 0xfffffc10, v11
	v_and_or_b32 v6, 0xffe, v10, v6
	v_med3_i32 v10, v12, 0, 13
	v_or_b32_e32 v12, 0x1000, v4
	v_med3_i32 v8, v8, 0, 13
	v_or_b32_e32 v13, 0x1000, v6
	v_lshrrev_b32_e32 v14, v10, v12
	v_lshrrev_b32_e32 v15, v8, v13
	v_lshlrev_b32_e32 v10, v10, v14
	v_lshlrev_b32_e32 v8, v8, v15
	v_cmp_ne_u32_e32 vcc_lo, v10, v12
	v_lshl_or_b32 v12, v9, 12, v4
	v_cndmask_b32_e64 v10, 0, 1, vcc_lo
	v_cmp_ne_u32_e32 vcc_lo, v8, v13
	v_lshl_or_b32 v13, v11, 12, v6
	v_or_b32_e32 v10, v14, v10
	v_cndmask_b32_e64 v8, 0, 1, vcc_lo
	v_cmp_gt_i32_e32 vcc_lo, 1, v9
	v_or_b32_e32 v8, v15, v8
	v_cndmask_b32_e32 v10, v12, v10, vcc_lo
	v_cmp_gt_i32_e32 vcc_lo, 1, v11
	v_and_b32_e32 v12, 7, v10
	v_cndmask_b32_e32 v8, v13, v8, vcc_lo
	v_cmp_ne_u32_e32 vcc_lo, 0, v4
	v_lshrrev_b32_e32 v10, 2, v10
	v_cmp_eq_u32_e64 s0, 3, v12
	v_and_b32_e32 v13, 7, v8
	v_cndmask_b32_e64 v4, 0, 1, vcc_lo
	v_cmp_ne_u32_e32 vcc_lo, 0, v6
	v_lshrrev_b32_e32 v8, 2, v8
	v_cmp_lt_i32_e64 s1, 5, v13
	v_cmp_eq_u32_e64 s2, 3, v13
	v_cndmask_b32_e64 v6, 0, 1, vcc_lo
	v_cmp_lt_i32_e32 vcc_lo, 5, v12
	v_lshl_or_b32 v4, v4, 9, 0x7c00
	v_lshl_or_b32 v6, v6, 9, 0x7c00
	s_or_b32 vcc_lo, s0, vcc_lo
	v_add_co_ci_u32_e32 v10, vcc_lo, 0, v10, vcc_lo
	s_or_b32 vcc_lo, s2, s1
	v_add_co_ci_u32_e32 v8, vcc_lo, 0, v8, vcc_lo
	v_cmp_gt_i32_e32 vcc_lo, 31, v9
	v_cndmask_b32_e32 v10, 0x7c00, v10, vcc_lo
	v_cmp_gt_i32_e32 vcc_lo, 31, v11
	v_cndmask_b32_e32 v8, 0x7c00, v8, vcc_lo
	v_cmp_eq_u32_e32 vcc_lo, 0x40f, v9
	v_cndmask_b32_e32 v4, v10, v4, vcc_lo
	v_cmp_eq_u32_e32 vcc_lo, 0x40f, v11
	v_and_or_b32 v4, 0x8000, v5, v4
	v_cndmask_b32_e32 v6, v8, v6, vcc_lo
	v_add_co_u32 v2, vcc_lo, v2, s6
	v_add_co_ci_u32_e32 v3, vcc_lo, s3, v3, vcc_lo
	v_and_or_b32 v5, 0x8000, v7, v6
	v_and_b32_e32 v4, 0xffff, v4
	v_lshl_or_b32 v4, v5, 16, v4
	global_store_dword v[2:3], v4, off
	global_load_dword v6, v30, s[12:13] offset:780
	ds_read2_b32 v[4:5], v33 offset0:195 offset1:208
	s_waitcnt lgkmcnt(0)
	v_lshrrev_b32_e32 v7, 16, v4
	s_waitcnt vmcnt(0)
	v_mul_f16_sdwa v8, v7, v6 dst_sel:DWORD dst_unused:UNUSED_PAD src0_sel:DWORD src1_sel:WORD_1
	v_mul_f16_sdwa v9, v4, v6 dst_sel:DWORD dst_unused:UNUSED_PAD src0_sel:DWORD src1_sel:WORD_1
	v_fmac_f16_e32 v8, v4, v6
	v_fma_f16 v4, v6, v7, -v9
	v_cvt_f32_f16_e32 v6, v8
	v_cvt_f32_f16_e32 v4, v4
	v_cvt_f64_f32_e32 v[6:7], v6
	v_cvt_f64_f32_e32 v[8:9], v4
	v_mul_f64 v[6:7], v[6:7], s[8:9]
	v_mul_f64 v[8:9], v[8:9], s[8:9]
	v_and_or_b32 v4, 0x1ff, v7, v6
	v_and_or_b32 v8, 0x1ff, v9, v8
	v_lshrrev_b32_e32 v6, 8, v7
	v_bfe_u32 v10, v7, 20, 11
	v_lshrrev_b32_e32 v11, 8, v9
	v_cmp_ne_u32_e32 vcc_lo, 0, v4
	v_bfe_u32 v12, v9, 20, 11
	v_lshrrev_b32_e32 v7, 16, v7
	v_sub_nc_u32_e32 v13, 0x3f1, v10
	v_add_nc_u32_e32 v10, 0xfffffc10, v10
	v_cndmask_b32_e64 v4, 0, 1, vcc_lo
	v_cmp_ne_u32_e32 vcc_lo, 0, v8
	v_lshrrev_b32_e32 v9, 16, v9
	v_and_or_b32 v4, 0xffe, v6, v4
	v_cndmask_b32_e64 v8, 0, 1, vcc_lo
	v_sub_nc_u32_e32 v6, 0x3f1, v12
	v_add_nc_u32_e32 v12, 0xfffffc10, v12
	v_and_or_b32 v8, 0xffe, v11, v8
	v_med3_i32 v11, v13, 0, 13
	v_or_b32_e32 v13, 0x1000, v4
	v_med3_i32 v6, v6, 0, 13
	v_or_b32_e32 v14, 0x1000, v8
	v_lshrrev_b32_e32 v15, v11, v13
	v_lshrrev_b32_e32 v16, v6, v14
	v_lshlrev_b32_e32 v11, v11, v15
	v_lshlrev_b32_e32 v6, v6, v16
	v_cmp_ne_u32_e32 vcc_lo, v11, v13
	v_lshl_or_b32 v13, v10, 12, v4
	v_cndmask_b32_e64 v11, 0, 1, vcc_lo
	v_cmp_ne_u32_e32 vcc_lo, v6, v14
	v_lshl_or_b32 v14, v12, 12, v8
	v_or_b32_e32 v11, v15, v11
	v_cndmask_b32_e64 v6, 0, 1, vcc_lo
	v_cmp_gt_i32_e32 vcc_lo, 1, v10
	v_or_b32_e32 v6, v16, v6
	v_cndmask_b32_e32 v11, v13, v11, vcc_lo
	v_cmp_gt_i32_e32 vcc_lo, 1, v12
	v_and_b32_e32 v13, 7, v11
	v_cndmask_b32_e32 v6, v14, v6, vcc_lo
	v_cmp_ne_u32_e32 vcc_lo, 0, v4
	v_lshrrev_b32_e32 v11, 2, v11
	v_cmp_eq_u32_e64 s0, 3, v13
	v_and_b32_e32 v14, 7, v6
	v_cndmask_b32_e64 v4, 0, 1, vcc_lo
	v_cmp_ne_u32_e32 vcc_lo, 0, v8
	v_lshrrev_b32_e32 v6, 2, v6
	v_cmp_lt_i32_e64 s1, 5, v14
	v_cmp_eq_u32_e64 s2, 3, v14
	v_cndmask_b32_e64 v8, 0, 1, vcc_lo
	v_cmp_lt_i32_e32 vcc_lo, 5, v13
	v_lshl_or_b32 v4, v4, 9, 0x7c00
	v_lshl_or_b32 v8, v8, 9, 0x7c00
	s_or_b32 vcc_lo, s0, vcc_lo
	v_add_co_ci_u32_e32 v11, vcc_lo, 0, v11, vcc_lo
	s_or_b32 vcc_lo, s2, s1
	v_add_co_ci_u32_e32 v6, vcc_lo, 0, v6, vcc_lo
	v_cmp_gt_i32_e32 vcc_lo, 31, v10
	v_cndmask_b32_e32 v11, 0x7c00, v11, vcc_lo
	v_cmp_gt_i32_e32 vcc_lo, 31, v12
	v_cndmask_b32_e32 v6, 0x7c00, v6, vcc_lo
	v_cmp_eq_u32_e32 vcc_lo, 0x40f, v10
	v_cndmask_b32_e32 v4, v11, v4, vcc_lo
	v_cmp_eq_u32_e32 vcc_lo, 0x40f, v12
	v_and_or_b32 v4, 0x8000, v7, v4
	v_cndmask_b32_e32 v6, v6, v8, vcc_lo
	v_add_co_u32 v2, vcc_lo, v2, s6
	v_add_co_ci_u32_e32 v3, vcc_lo, s3, v3, vcc_lo
	v_and_or_b32 v6, 0x8000, v9, v6
	v_and_b32_e32 v4, 0xffff, v4
	v_lshl_or_b32 v4, v6, 16, v4
	global_store_dword v[2:3], v4, off
	global_load_dword v2, v30, s[12:13] offset:832
	v_lshrrev_b32_e32 v3, 16, v5
	s_waitcnt vmcnt(0)
	v_mul_f16_sdwa v4, v3, v2 dst_sel:DWORD dst_unused:UNUSED_PAD src0_sel:DWORD src1_sel:WORD_1
	v_mul_f16_sdwa v6, v5, v2 dst_sel:DWORD dst_unused:UNUSED_PAD src0_sel:DWORD src1_sel:WORD_1
	v_fmac_f16_e32 v4, v5, v2
	v_fma_f16 v2, v2, v3, -v6
	v_cvt_f32_f16_e32 v3, v4
	v_cvt_f32_f16_e32 v4, v2
	v_cvt_f64_f32_e32 v[2:3], v3
	v_cvt_f64_f32_e32 v[4:5], v4
	v_mul_f64 v[2:3], v[2:3], s[8:9]
	v_mul_f64 v[4:5], v[4:5], s[8:9]
	v_and_or_b32 v2, 0x1ff, v3, v2
	v_and_or_b32 v4, 0x1ff, v5, v4
	v_lshrrev_b32_e32 v6, 8, v3
	v_bfe_u32 v8, v3, 20, 11
	v_bfe_u32 v9, v5, 20, 11
	v_cmp_ne_u32_e32 vcc_lo, 0, v2
	v_lshrrev_b32_e32 v7, 8, v5
	v_lshrrev_b32_e32 v5, 16, v5
	v_sub_nc_u32_e32 v10, 0x3f1, v8
	v_sub_nc_u32_e32 v11, 0x3f1, v9
	v_cndmask_b32_e64 v2, 0, 1, vcc_lo
	v_cmp_ne_u32_e32 vcc_lo, 0, v4
	v_add_nc_u32_e32 v9, 0xfffffc10, v9
	v_and_or_b32 v12, 0xffe, v6, v2
	v_cndmask_b32_e64 v4, 0, 1, vcc_lo
	v_med3_i32 v2, v10, 0, 13
	v_med3_i32 v10, v11, 0, 13
	v_or_b32_e32 v11, 0x1000, v12
	v_and_or_b32 v4, 0xffe, v7, v4
	v_mad_u64_u32 v[6:7], null, s4, v29, 0
	v_lshrrev_b32_e32 v14, v2, v11
	v_or_b32_e32 v13, 0x1000, v4
	v_lshlrev_b32_e32 v16, v2, v14
	v_lshrrev_b32_e32 v15, v10, v13
	v_mov_b32_e32 v2, v7
	v_cmp_ne_u32_e32 vcc_lo, v16, v11
	v_lshlrev_b32_e32 v7, v10, v15
	v_add_nc_u32_e32 v10, 0xfffffc10, v8
	v_cndmask_b32_e64 v11, 0, 1, vcc_lo
	v_cmp_ne_u32_e32 vcc_lo, v7, v13
	v_mad_u64_u32 v[7:8], null, s5, v29, v[2:3]
	v_lshl_or_b32 v2, v10, 12, v12
	v_or_b32_e32 v8, v14, v11
	v_cndmask_b32_e64 v13, 0, 1, vcc_lo
	v_cmp_gt_i32_e32 vcc_lo, 1, v10
	v_lshl_or_b32 v11, v9, 12, v4
	v_lshrrev_b32_e32 v3, 16, v3
	v_or_b32_e32 v13, v15, v13
	v_cndmask_b32_e32 v2, v2, v8, vcc_lo
	v_cmp_gt_i32_e32 vcc_lo, 1, v9
	v_cndmask_b32_e32 v8, v11, v13, vcc_lo
	v_cmp_ne_u32_e32 vcc_lo, 0, v12
	v_and_b32_e32 v12, 7, v2
	v_lshrrev_b32_e32 v2, 2, v2
	v_and_b32_e32 v13, 7, v8
	v_cndmask_b32_e64 v11, 0, 1, vcc_lo
	v_cmp_ne_u32_e32 vcc_lo, 0, v4
	v_cmp_eq_u32_e64 s0, 3, v12
	v_lshrrev_b32_e32 v8, 2, v8
	v_cmp_lt_i32_e64 s1, 5, v13
	v_cmp_eq_u32_e64 s2, 3, v13
	v_cndmask_b32_e64 v4, 0, 1, vcc_lo
	v_cmp_lt_i32_e32 vcc_lo, 5, v12
	v_lshl_or_b32 v11, v11, 9, 0x7c00
	v_lshl_or_b32 v4, v4, 9, 0x7c00
	s_or_b32 vcc_lo, s0, vcc_lo
	v_add_co_ci_u32_e32 v2, vcc_lo, 0, v2, vcc_lo
	s_or_b32 vcc_lo, s2, s1
	v_add_co_ci_u32_e32 v8, vcc_lo, 0, v8, vcc_lo
	v_cmp_gt_i32_e32 vcc_lo, 31, v10
	v_cndmask_b32_e32 v2, 0x7c00, v2, vcc_lo
	v_cmp_gt_i32_e32 vcc_lo, 31, v9
	v_cndmask_b32_e32 v8, 0x7c00, v8, vcc_lo
	v_cmp_eq_u32_e32 vcc_lo, 0x40f, v10
	v_cndmask_b32_e32 v2, v2, v11, vcc_lo
	v_cmp_eq_u32_e32 vcc_lo, 0x40f, v9
	v_and_or_b32 v2, 0x8000, v3, v2
	v_cndmask_b32_e32 v4, v8, v4, vcc_lo
	v_and_or_b32 v4, 0x8000, v5, v4
	v_and_b32_e32 v5, 0xffff, v2
	v_lshlrev_b64 v[2:3], 2, v[6:7]
	v_lshl_or_b32 v4, v4, 16, v5
	v_add_co_u32 v0, vcc_lo, v0, v2
	v_add_co_ci_u32_e32 v1, vcc_lo, v1, v3, vcc_lo
	global_store_dword v[0:1], v4, off
.LBB0_15:
	s_endpgm
	.section	.rodata,"a",@progbits
	.p2align	6, 0x0
	.amdhsa_kernel bluestein_single_back_len221_dim1_half_op_CI_CI
		.amdhsa_group_segment_fixed_size 6188
		.amdhsa_private_segment_fixed_size 0
		.amdhsa_kernarg_size 104
		.amdhsa_user_sgpr_count 6
		.amdhsa_user_sgpr_private_segment_buffer 1
		.amdhsa_user_sgpr_dispatch_ptr 0
		.amdhsa_user_sgpr_queue_ptr 0
		.amdhsa_user_sgpr_kernarg_segment_ptr 1
		.amdhsa_user_sgpr_dispatch_id 0
		.amdhsa_user_sgpr_flat_scratch_init 0
		.amdhsa_user_sgpr_private_segment_size 0
		.amdhsa_wavefront_size32 1
		.amdhsa_uses_dynamic_stack 0
		.amdhsa_system_sgpr_private_segment_wavefront_offset 0
		.amdhsa_system_sgpr_workgroup_id_x 1
		.amdhsa_system_sgpr_workgroup_id_y 0
		.amdhsa_system_sgpr_workgroup_id_z 0
		.amdhsa_system_sgpr_workgroup_info 0
		.amdhsa_system_vgpr_workitem_id 0
		.amdhsa_next_free_vgpr 217
		.amdhsa_next_free_sgpr 16
		.amdhsa_reserve_vcc 1
		.amdhsa_reserve_flat_scratch 0
		.amdhsa_float_round_mode_32 0
		.amdhsa_float_round_mode_16_64 0
		.amdhsa_float_denorm_mode_32 3
		.amdhsa_float_denorm_mode_16_64 3
		.amdhsa_dx10_clamp 1
		.amdhsa_ieee_mode 1
		.amdhsa_fp16_overflow 0
		.amdhsa_workgroup_processor_mode 1
		.amdhsa_memory_ordered 1
		.amdhsa_forward_progress 0
		.amdhsa_shared_vgpr_count 0
		.amdhsa_exception_fp_ieee_invalid_op 0
		.amdhsa_exception_fp_denorm_src 0
		.amdhsa_exception_fp_ieee_div_zero 0
		.amdhsa_exception_fp_ieee_overflow 0
		.amdhsa_exception_fp_ieee_underflow 0
		.amdhsa_exception_fp_ieee_inexact 0
		.amdhsa_exception_int_div_zero 0
	.end_amdhsa_kernel
	.text
.Lfunc_end0:
	.size	bluestein_single_back_len221_dim1_half_op_CI_CI, .Lfunc_end0-bluestein_single_back_len221_dim1_half_op_CI_CI
                                        ; -- End function
	.section	.AMDGPU.csdata,"",@progbits
; Kernel info:
; codeLenInByte = 29876
; NumSgprs: 18
; NumVgprs: 217
; ScratchSize: 0
; MemoryBound: 0
; FloatMode: 240
; IeeeMode: 1
; LDSByteSize: 6188 bytes/workgroup (compile time only)
; SGPRBlocks: 2
; VGPRBlocks: 27
; NumSGPRsForWavesPerEU: 18
; NumVGPRsForWavesPerEU: 217
; Occupancy: 4
; WaveLimiterHint : 1
; COMPUTE_PGM_RSRC2:SCRATCH_EN: 0
; COMPUTE_PGM_RSRC2:USER_SGPR: 6
; COMPUTE_PGM_RSRC2:TRAP_HANDLER: 0
; COMPUTE_PGM_RSRC2:TGID_X_EN: 1
; COMPUTE_PGM_RSRC2:TGID_Y_EN: 0
; COMPUTE_PGM_RSRC2:TGID_Z_EN: 0
; COMPUTE_PGM_RSRC2:TIDIG_COMP_CNT: 0
	.text
	.p2alignl 6, 3214868480
	.fill 48, 4, 3214868480
	.type	__hip_cuid_85503c2d36f0348e,@object ; @__hip_cuid_85503c2d36f0348e
	.section	.bss,"aw",@nobits
	.globl	__hip_cuid_85503c2d36f0348e
__hip_cuid_85503c2d36f0348e:
	.byte	0                               ; 0x0
	.size	__hip_cuid_85503c2d36f0348e, 1

	.ident	"AMD clang version 19.0.0git (https://github.com/RadeonOpenCompute/llvm-project roc-6.4.0 25133 c7fe45cf4b819c5991fe208aaa96edf142730f1d)"
	.section	".note.GNU-stack","",@progbits
	.addrsig
	.addrsig_sym __hip_cuid_85503c2d36f0348e
	.amdgpu_metadata
---
amdhsa.kernels:
  - .args:
      - .actual_access:  read_only
        .address_space:  global
        .offset:         0
        .size:           8
        .value_kind:     global_buffer
      - .actual_access:  read_only
        .address_space:  global
        .offset:         8
        .size:           8
        .value_kind:     global_buffer
      - .actual_access:  read_only
        .address_space:  global
        .offset:         16
        .size:           8
        .value_kind:     global_buffer
      - .actual_access:  read_only
        .address_space:  global
        .offset:         24
        .size:           8
        .value_kind:     global_buffer
      - .actual_access:  read_only
        .address_space:  global
        .offset:         32
        .size:           8
        .value_kind:     global_buffer
      - .offset:         40
        .size:           8
        .value_kind:     by_value
      - .address_space:  global
        .offset:         48
        .size:           8
        .value_kind:     global_buffer
      - .address_space:  global
        .offset:         56
        .size:           8
        .value_kind:     global_buffer
      - .address_space:  global
        .offset:         64
        .size:           8
        .value_kind:     global_buffer
      - .address_space:  global
        .offset:         72
        .size:           8
        .value_kind:     global_buffer
      - .offset:         80
        .size:           4
        .value_kind:     by_value
      - .address_space:  global
        .offset:         88
        .size:           8
        .value_kind:     global_buffer
      - .address_space:  global
        .offset:         96
        .size:           8
        .value_kind:     global_buffer
    .group_segment_fixed_size: 6188
    .kernarg_segment_align: 8
    .kernarg_segment_size: 104
    .language:       OpenCL C
    .language_version:
      - 2
      - 0
    .max_flat_workgroup_size: 119
    .name:           bluestein_single_back_len221_dim1_half_op_CI_CI
    .private_segment_fixed_size: 0
    .sgpr_count:     18
    .sgpr_spill_count: 0
    .symbol:         bluestein_single_back_len221_dim1_half_op_CI_CI.kd
    .uniform_work_group_size: 1
    .uses_dynamic_stack: false
    .vgpr_count:     217
    .vgpr_spill_count: 0
    .wavefront_size: 32
    .workgroup_processor_mode: 1
amdhsa.target:   amdgcn-amd-amdhsa--gfx1030
amdhsa.version:
  - 1
  - 2
...

	.end_amdgpu_metadata
